;; amdgpu-corpus repo=ROCm/rocFFT kind=compiled arch=gfx906 opt=O3
	.text
	.amdgcn_target "amdgcn-amd-amdhsa--gfx906"
	.amdhsa_code_object_version 6
	.protected	fft_rtc_fwd_len1960_factors_4_7_2_7_5_wgs_56_tpt_56_halfLds_half_op_CI_CI_unitstride_sbrr_dirReg ; -- Begin function fft_rtc_fwd_len1960_factors_4_7_2_7_5_wgs_56_tpt_56_halfLds_half_op_CI_CI_unitstride_sbrr_dirReg
	.globl	fft_rtc_fwd_len1960_factors_4_7_2_7_5_wgs_56_tpt_56_halfLds_half_op_CI_CI_unitstride_sbrr_dirReg
	.p2align	8
	.type	fft_rtc_fwd_len1960_factors_4_7_2_7_5_wgs_56_tpt_56_halfLds_half_op_CI_CI_unitstride_sbrr_dirReg,@function
fft_rtc_fwd_len1960_factors_4_7_2_7_5_wgs_56_tpt_56_halfLds_half_op_CI_CI_unitstride_sbrr_dirReg: ; @fft_rtc_fwd_len1960_factors_4_7_2_7_5_wgs_56_tpt_56_halfLds_half_op_CI_CI_unitstride_sbrr_dirReg
; %bb.0:
	s_load_dwordx4 s[8:11], s[4:5], 0x58
	s_load_dwordx4 s[12:15], s[4:5], 0x0
	;; [unrolled: 1-line block ×3, first 2 shown]
	v_mul_u32_u24_e32 v1, 0x493, v0
	v_add_u32_sdwa v10, s6, v1 dst_sel:DWORD dst_unused:UNUSED_PAD src0_sel:DWORD src1_sel:WORD_1
	v_mov_b32_e32 v8, 0
	s_waitcnt lgkmcnt(0)
	v_cmp_lt_u64_e64 s[0:1], s[14:15], 2
	v_mov_b32_e32 v1, 0
	v_mov_b32_e32 v11, v8
	s_and_b64 vcc, exec, s[0:1]
	v_mov_b32_e32 v2, 0
	s_cbranch_vccnz .LBB0_8
; %bb.1:
	s_load_dwordx2 s[0:1], s[4:5], 0x10
	s_add_u32 s2, s18, 8
	s_addc_u32 s3, s19, 0
	s_add_u32 s6, s16, 8
	v_mov_b32_e32 v1, 0
	s_addc_u32 s7, s17, 0
	v_mov_b32_e32 v2, 0
	s_waitcnt lgkmcnt(0)
	s_add_u32 s20, s0, 8
	v_mov_b32_e32 v5, v2
	s_addc_u32 s21, s1, 0
	s_mov_b64 s[22:23], 1
	v_mov_b32_e32 v4, v1
.LBB0_2:                                ; =>This Inner Loop Header: Depth=1
	s_load_dwordx2 s[24:25], s[20:21], 0x0
                                        ; implicit-def: $vgpr6_vgpr7
	s_waitcnt lgkmcnt(0)
	v_or_b32_e32 v9, s25, v11
	v_cmp_ne_u64_e32 vcc, 0, v[8:9]
	s_and_saveexec_b64 s[0:1], vcc
	s_xor_b64 s[26:27], exec, s[0:1]
	s_cbranch_execz .LBB0_4
; %bb.3:                                ;   in Loop: Header=BB0_2 Depth=1
	v_cvt_f32_u32_e32 v3, s24
	v_cvt_f32_u32_e32 v6, s25
	s_sub_u32 s0, 0, s24
	s_subb_u32 s1, 0, s25
	v_mac_f32_e32 v3, 0x4f800000, v6
	v_rcp_f32_e32 v3, v3
	v_mul_f32_e32 v3, 0x5f7ffffc, v3
	v_mul_f32_e32 v6, 0x2f800000, v3
	v_trunc_f32_e32 v6, v6
	v_mac_f32_e32 v3, 0xcf800000, v6
	v_cvt_u32_f32_e32 v6, v6
	v_cvt_u32_f32_e32 v3, v3
	v_mul_lo_u32 v7, s0, v6
	v_mul_hi_u32 v9, s0, v3
	v_mul_lo_u32 v13, s1, v3
	v_mul_lo_u32 v12, s0, v3
	v_add_u32_e32 v7, v9, v7
	v_add_u32_e32 v7, v7, v13
	v_mul_hi_u32 v9, v3, v12
	v_mul_lo_u32 v13, v3, v7
	v_mul_hi_u32 v15, v3, v7
	v_mul_hi_u32 v14, v6, v12
	v_mul_lo_u32 v12, v6, v12
	v_mul_hi_u32 v16, v6, v7
	v_add_co_u32_e32 v9, vcc, v9, v13
	v_addc_co_u32_e32 v13, vcc, 0, v15, vcc
	v_mul_lo_u32 v7, v6, v7
	v_add_co_u32_e32 v9, vcc, v9, v12
	v_addc_co_u32_e32 v9, vcc, v13, v14, vcc
	v_addc_co_u32_e32 v12, vcc, 0, v16, vcc
	v_add_co_u32_e32 v7, vcc, v9, v7
	v_addc_co_u32_e32 v9, vcc, 0, v12, vcc
	v_add_co_u32_e32 v3, vcc, v3, v7
	v_addc_co_u32_e32 v6, vcc, v6, v9, vcc
	v_mul_lo_u32 v7, s0, v6
	v_mul_hi_u32 v9, s0, v3
	v_mul_lo_u32 v12, s1, v3
	v_mul_lo_u32 v13, s0, v3
	v_add_u32_e32 v7, v9, v7
	v_add_u32_e32 v7, v7, v12
	v_mul_lo_u32 v14, v3, v7
	v_mul_hi_u32 v15, v3, v13
	v_mul_hi_u32 v16, v3, v7
	v_mul_hi_u32 v12, v6, v13
	v_mul_lo_u32 v13, v6, v13
	v_mul_hi_u32 v9, v6, v7
	v_add_co_u32_e32 v14, vcc, v15, v14
	v_addc_co_u32_e32 v15, vcc, 0, v16, vcc
	v_mul_lo_u32 v7, v6, v7
	v_add_co_u32_e32 v13, vcc, v14, v13
	v_addc_co_u32_e32 v12, vcc, v15, v12, vcc
	v_addc_co_u32_e32 v9, vcc, 0, v9, vcc
	v_add_co_u32_e32 v7, vcc, v12, v7
	v_addc_co_u32_e32 v9, vcc, 0, v9, vcc
	v_add_co_u32_e32 v3, vcc, v3, v7
	v_addc_co_u32_e32 v9, vcc, v6, v9, vcc
	v_mad_u64_u32 v[6:7], s[0:1], v10, v9, 0
	v_mul_hi_u32 v12, v10, v3
	v_add_co_u32_e32 v14, vcc, v12, v6
	v_addc_co_u32_e32 v15, vcc, 0, v7, vcc
	v_mad_u64_u32 v[6:7], s[0:1], v11, v3, 0
	v_mad_u64_u32 v[12:13], s[0:1], v11, v9, 0
	v_add_co_u32_e32 v3, vcc, v14, v6
	v_addc_co_u32_e32 v3, vcc, v15, v7, vcc
	v_addc_co_u32_e32 v6, vcc, 0, v13, vcc
	v_add_co_u32_e32 v3, vcc, v3, v12
	v_addc_co_u32_e32 v9, vcc, 0, v6, vcc
	v_mul_lo_u32 v12, s25, v3
	v_mul_lo_u32 v13, s24, v9
	v_mad_u64_u32 v[6:7], s[0:1], s24, v3, 0
	v_add3_u32 v7, v7, v13, v12
	v_sub_u32_e32 v12, v11, v7
	v_mov_b32_e32 v13, s25
	v_sub_co_u32_e32 v6, vcc, v10, v6
	v_subb_co_u32_e64 v12, s[0:1], v12, v13, vcc
	v_subrev_co_u32_e64 v13, s[0:1], s24, v6
	v_subbrev_co_u32_e64 v12, s[0:1], 0, v12, s[0:1]
	v_cmp_le_u32_e64 s[0:1], s25, v12
	v_cndmask_b32_e64 v14, 0, -1, s[0:1]
	v_cmp_le_u32_e64 s[0:1], s24, v13
	v_cndmask_b32_e64 v13, 0, -1, s[0:1]
	v_cmp_eq_u32_e64 s[0:1], s25, v12
	v_cndmask_b32_e64 v12, v14, v13, s[0:1]
	v_add_co_u32_e64 v13, s[0:1], 2, v3
	v_addc_co_u32_e64 v14, s[0:1], 0, v9, s[0:1]
	v_add_co_u32_e64 v15, s[0:1], 1, v3
	v_addc_co_u32_e64 v16, s[0:1], 0, v9, s[0:1]
	v_subb_co_u32_e32 v7, vcc, v11, v7, vcc
	v_cmp_ne_u32_e64 s[0:1], 0, v12
	v_cmp_le_u32_e32 vcc, s25, v7
	v_cndmask_b32_e64 v12, v16, v14, s[0:1]
	v_cndmask_b32_e64 v14, 0, -1, vcc
	v_cmp_le_u32_e32 vcc, s24, v6
	v_cndmask_b32_e64 v6, 0, -1, vcc
	v_cmp_eq_u32_e32 vcc, s25, v7
	v_cndmask_b32_e32 v6, v14, v6, vcc
	v_cmp_ne_u32_e32 vcc, 0, v6
	v_cndmask_b32_e64 v6, v15, v13, s[0:1]
	v_cndmask_b32_e32 v7, v9, v12, vcc
	v_cndmask_b32_e32 v6, v3, v6, vcc
.LBB0_4:                                ;   in Loop: Header=BB0_2 Depth=1
	s_andn2_saveexec_b64 s[0:1], s[26:27]
	s_cbranch_execz .LBB0_6
; %bb.5:                                ;   in Loop: Header=BB0_2 Depth=1
	v_cvt_f32_u32_e32 v3, s24
	s_sub_i32 s26, 0, s24
	v_rcp_iflag_f32_e32 v3, v3
	v_mul_f32_e32 v3, 0x4f7ffffe, v3
	v_cvt_u32_f32_e32 v3, v3
	v_mul_lo_u32 v6, s26, v3
	v_mul_hi_u32 v6, v3, v6
	v_add_u32_e32 v3, v3, v6
	v_mul_hi_u32 v3, v10, v3
	v_mul_lo_u32 v6, v3, s24
	v_add_u32_e32 v7, 1, v3
	v_sub_u32_e32 v6, v10, v6
	v_subrev_u32_e32 v9, s24, v6
	v_cmp_le_u32_e32 vcc, s24, v6
	v_cndmask_b32_e32 v6, v6, v9, vcc
	v_cndmask_b32_e32 v3, v3, v7, vcc
	v_add_u32_e32 v7, 1, v3
	v_cmp_le_u32_e32 vcc, s24, v6
	v_cndmask_b32_e32 v6, v3, v7, vcc
	v_mov_b32_e32 v7, v8
.LBB0_6:                                ;   in Loop: Header=BB0_2 Depth=1
	s_or_b64 exec, exec, s[0:1]
	v_mul_lo_u32 v3, v7, s24
	v_mul_lo_u32 v9, v6, s25
	v_mad_u64_u32 v[12:13], s[0:1], v6, s24, 0
	s_load_dwordx2 s[0:1], s[6:7], 0x0
	s_load_dwordx2 s[24:25], s[2:3], 0x0
	v_add3_u32 v3, v13, v9, v3
	v_sub_co_u32_e32 v9, vcc, v10, v12
	v_subb_co_u32_e32 v3, vcc, v11, v3, vcc
	s_waitcnt lgkmcnt(0)
	v_mul_lo_u32 v10, s0, v3
	v_mul_lo_u32 v11, s1, v9
	v_mad_u64_u32 v[1:2], s[0:1], s0, v9, v[1:2]
	s_add_u32 s22, s22, 1
	s_addc_u32 s23, s23, 0
	s_add_u32 s2, s2, 8
	v_mul_lo_u32 v3, s24, v3
	v_mul_lo_u32 v12, s25, v9
	v_mad_u64_u32 v[4:5], s[0:1], s24, v9, v[4:5]
	v_add3_u32 v2, v11, v2, v10
	s_addc_u32 s3, s3, 0
	v_mov_b32_e32 v9, s14
	s_add_u32 s6, s6, 8
	v_mov_b32_e32 v10, s15
	s_addc_u32 s7, s7, 0
	v_cmp_ge_u64_e32 vcc, s[22:23], v[9:10]
	s_add_u32 s20, s20, 8
	v_add3_u32 v5, v12, v5, v3
	s_addc_u32 s21, s21, 0
	s_cbranch_vccnz .LBB0_9
; %bb.7:                                ;   in Loop: Header=BB0_2 Depth=1
	v_mov_b32_e32 v11, v7
	v_mov_b32_e32 v10, v6
	s_branch .LBB0_2
.LBB0_8:
	v_mov_b32_e32 v5, v2
	v_mov_b32_e32 v6, v10
	;; [unrolled: 1-line block ×4, first 2 shown]
.LBB0_9:
	s_load_dwordx2 s[2:3], s[4:5], 0x28
	s_lshl_b64 s[6:7], s[14:15], 3
	s_add_u32 s4, s18, s6
	s_addc_u32 s5, s19, s7
                                        ; implicit-def: $sgpr14
                                        ; implicit-def: $vgpr17
                                        ; implicit-def: $vgpr3
	s_waitcnt lgkmcnt(0)
	v_cmp_gt_u64_e64 s[0:1], s[2:3], v[6:7]
	v_cmp_le_u64_e32 vcc, s[2:3], v[6:7]
	s_and_saveexec_b64 s[2:3], vcc
	s_xor_b64 s[2:3], exec, s[2:3]
; %bb.10:
	s_mov_b32 s14, 0x4924925
	v_mul_hi_u32 v1, v0, s14
	s_mov_b32 s14, 0
	v_mul_u32_u24_e32 v1, 56, v1
	v_sub_u32_e32 v17, v0, v1
	v_or_b32_e32 v3, 0x1c0, v17
                                        ; implicit-def: $vgpr0
                                        ; implicit-def: $vgpr1_vgpr2
; %bb.11:
	s_or_saveexec_b64 s[2:3], s[2:3]
	s_load_dwordx2 s[4:5], s[4:5], 0x0
	v_mov_b32_e32 v10, s14
	v_mov_b32_e32 v36, s14
	;; [unrolled: 1-line block ×4, first 2 shown]
                                        ; implicit-def: $vgpr8
                                        ; implicit-def: $vgpr9
                                        ; implicit-def: $vgpr18
                                        ; implicit-def: $vgpr13
                                        ; implicit-def: $vgpr19
                                        ; implicit-def: $vgpr15
                                        ; implicit-def: $vgpr71
                                        ; implicit-def: $vgpr27
                                        ; implicit-def: $vgpr20
                                        ; implicit-def: $vgpr11
                                        ; implicit-def: $vgpr21
                                        ; implicit-def: $vgpr14
                                        ; implicit-def: $vgpr22
                                        ; implicit-def: $vgpr26
                                        ; implicit-def: $vgpr73
                                        ; implicit-def: $vgpr28
                                        ; implicit-def: $vgpr23
                                        ; implicit-def: $vgpr12
                                        ; implicit-def: $vgpr24
                                        ; implicit-def: $vgpr42
                                        ; implicit-def: $vgpr30
                                        ; implicit-def: $vgpr53
                                        ; implicit-def: $vgpr75
                                        ; implicit-def: $vgpr62
                                        ; implicit-def: $vgpr31
                                        ; implicit-def: $vgpr29
                                        ; implicit-def: $vgpr34
                                        ; implicit-def: $vgpr43
                                        ; implicit-def: $vgpr38
                                        ; implicit-def: $vgpr54
                                        ; implicit-def: $vgpr76
                                        ; implicit-def: $vgpr63
                                        ; implicit-def: $vgpr39
                                        ; implicit-def: $vgpr32
                                        ; implicit-def: $vgpr41
                                        ; implicit-def: $vgpr44
                                        ; implicit-def: $vgpr48
                                        ; implicit-def: $vgpr55
                                        ; implicit-def: $vgpr77
                                        ; implicit-def: $vgpr64
                                        ; implicit-def: $vgpr49
                                        ; implicit-def: $vgpr35
                                        ; implicit-def: $vgpr50
                                        ; implicit-def: $vgpr45
                                        ; implicit-def: $vgpr51
                                        ; implicit-def: $vgpr56
                                        ; implicit-def: $vgpr78
                                        ; implicit-def: $vgpr65
                                        ; implicit-def: $vgpr52
                                        ; implicit-def: $vgpr37
                                        ; implicit-def: $vgpr57
                                        ; implicit-def: $vgpr46
                                        ; implicit-def: $vgpr60
                                        ; implicit-def: $vgpr58
                                        ; implicit-def: $vgpr79
                                        ; implicit-def: $vgpr66
                                        ; implicit-def: $vgpr61
                                        ; implicit-def: $vgpr40
                                        ; implicit-def: $vgpr68
                                        ; implicit-def: $vgpr47
                                        ; implicit-def: $vgpr69
                                        ; implicit-def: $vgpr59
                                        ; implicit-def: $vgpr80
                                        ; implicit-def: $vgpr67
                                        ; implicit-def: $vgpr25
                                        ; implicit-def: $vgpr70
                                        ; implicit-def: $vgpr74
                                        ; implicit-def: $vgpr72
	s_xor_b64 exec, exec, s[2:3]
	s_cbranch_execz .LBB0_15
; %bb.12:
	s_add_u32 s6, s16, s6
	s_addc_u32 s7, s17, s7
	s_load_dwordx2 s[6:7], s[6:7], 0x0
	s_mov_b32 s14, 0x4924925
	v_mul_hi_u32 v3, v0, s14
	v_mov_b32_e32 v33, 0
	v_mov_b32_e32 v16, 0
	s_waitcnt lgkmcnt(0)
	v_mul_lo_u32 v10, s7, v6
	v_mul_lo_u32 v11, s6, v7
	v_mad_u64_u32 v[8:9], s[6:7], s6, v6, 0
	v_mul_u32_u24_e32 v3, 56, v3
	v_sub_u32_e32 v17, v0, v3
	v_add3_u32 v9, v9, v11, v10
	v_lshlrev_b64 v[8:9], 2, v[8:9]
	v_mov_b32_e32 v0, s9
	v_add_co_u32_e32 v3, vcc, s8, v8
	v_addc_co_u32_e32 v8, vcc, v0, v9, vcc
	v_lshlrev_b64 v[0:1], 2, v[1:2]
	v_lshlrev_b32_e32 v2, 2, v17
	v_add_co_u32_e32 v0, vcc, v3, v0
	v_addc_co_u32_e32 v1, vcc, v8, v1, vcc
	v_add_co_u32_e32 v0, vcc, v0, v2
	v_addc_co_u32_e32 v1, vcc, 0, v1, vcc
	s_movk_i32 s6, 0x1000
	v_add_co_u32_e32 v2, vcc, s6, v0
	v_addc_co_u32_e32 v3, vcc, 0, v1, vcc
	global_load_dword v9, v[0:1], off
	global_load_dword v11, v[0:1], off offset:224
	global_load_dword v12, v[0:1], off offset:448
	;; [unrolled: 1-line block ×31, first 2 shown]
	v_or_b32_e32 v3, 0x1c0, v17
	s_movk_i32 s6, 0x1ea
	v_cmp_gt_u32_e32 vcc, s6, v3
	v_mov_b32_e32 v36, 0
	v_mov_b32_e32 v10, 0
                                        ; implicit-def: $vgpr72
                                        ; implicit-def: $vgpr74
                                        ; implicit-def: $vgpr70
                                        ; implicit-def: $vgpr25
	s_and_saveexec_b64 s[6:7], vcc
	s_cbranch_execz .LBB0_14
; %bb.13:
	v_add_co_u32_e32 v18, vcc, 0x1000, v0
	v_addc_co_u32_e32 v19, vcc, 0, v1, vcc
	global_load_dword v36, v[0:1], off offset:1792
	global_load_dword v33, v[0:1], off offset:3752
	;; [unrolled: 1-line block ×4, first 2 shown]
	s_waitcnt vmcnt(3)
	v_lshrrev_b32_e32 v10, 16, v36
	s_waitcnt vmcnt(2)
	v_lshrrev_b32_e32 v16, 16, v33
	;; [unrolled: 2-line block ×4, first 2 shown]
.LBB0_14:
	s_or_b64 exec, exec, s[6:7]
	s_waitcnt vmcnt(31)
	v_lshrrev_b32_e32 v8, 16, v9
	s_waitcnt vmcnt(23)
	v_lshrrev_b32_e32 v18, 16, v13
	;; [unrolled: 2-line block ×4, first 2 shown]
	v_lshrrev_b32_e32 v20, 16, v11
	v_lshrrev_b32_e32 v21, 16, v14
	v_lshrrev_b32_e32 v22, 16, v26
	s_waitcnt vmcnt(6)
	v_lshrrev_b32_e32 v73, 16, v28
	v_lshrrev_b32_e32 v23, 16, v12
	v_lshrrev_b32_e32 v24, 16, v42
	v_lshrrev_b32_e32 v30, 16, v53
	s_waitcnt vmcnt(5)
	v_lshrrev_b32_e32 v75, 16, v62
	;; [unrolled: 5-line block ×7, first 2 shown]
.LBB0_15:
	s_or_b64 exec, exec, s[2:3]
	v_sub_f16_e32 v0, v9, v15
	v_sub_f16_e32 v1, v13, v27
	v_fma_f16 v2, v9, 2.0, -v0
	v_fma_f16 v9, v13, 2.0, -v1
	v_sub_f16_e32 v9, v2, v9
	v_sub_f16_e32 v27, v18, v71
	v_fma_f16 v13, v2, 2.0, -v9
	v_sub_f16_e32 v2, v11, v26
	v_sub_f16_e32 v26, v14, v28
	;; [unrolled: 1-line block ×3, first 2 shown]
	v_fma_f16 v11, v11, 2.0, -v2
	v_fma_f16 v14, v14, 2.0, -v26
	v_sub_f16_e32 v82, v2, v71
	v_sub_f16_e32 v14, v11, v14
	v_fma_f16 v83, v2, 2.0, -v82
	v_sub_f16_e32 v2, v12, v53
	v_sub_f16_e32 v28, v42, v62
	;; [unrolled: 1-line block ×3, first 2 shown]
	v_fma_f16 v81, v11, 2.0, -v14
	v_fma_f16 v11, v12, 2.0, -v2
	;; [unrolled: 1-line block ×3, first 2 shown]
	v_sub_f16_e32 v85, v2, v73
	v_sub_f16_e32 v62, v11, v12
	v_fma_f16 v86, v2, 2.0, -v85
	v_sub_f16_e32 v2, v29, v54
	v_fma_f16 v84, v11, 2.0, -v62
	v_fma_f16 v11, v29, 2.0, -v2
	v_sub_f16_e32 v29, v43, v63
	v_sub_f16_e32 v42, v34, v76
	v_fma_f16 v12, v43, 2.0, -v29
	v_sub_f16_e32 v87, v2, v42
	v_sub_f16_e32 v63, v11, v12
	v_fma_f16 v88, v2, 2.0, -v87
	v_sub_f16_e32 v2, v32, v55
	v_fma_f16 v76, v11, 2.0, -v63
	v_fma_f16 v11, v32, 2.0, -v2
	v_sub_f16_e32 v32, v44, v64
	v_sub_f16_e32 v75, v41, v77
	v_fma_f16 v12, v44, 2.0, -v32
	v_sub_f16_e32 v89, v2, v75
	v_sub_f16_e32 v64, v11, v12
	;; [unrolled: 3-line block ×3, first 2 shown]
	v_sub_f16_e32 v44, v50, v78
	v_fma_f16 v77, v11, 2.0, -v64
	v_fma_f16 v11, v35, 2.0, -v2
	;; [unrolled: 1-line block ×3, first 2 shown]
	v_sub_f16_e32 v91, v2, v44
	v_sub_f16_e32 v65, v11, v12
	v_fma_f16 v92, v2, 2.0, -v91
	v_sub_f16_e32 v2, v37, v58
	v_fma_f16 v78, v11, 2.0, -v65
	v_fma_f16 v11, v37, 2.0, -v2
	v_sub_f16_e32 v37, v46, v66
	v_sub_f16_e32 v45, v57, v79
	v_fma_f16 v12, v46, 2.0, -v37
	v_sub_f16_e32 v79, v2, v45
	v_sub_f16_e32 v58, v11, v12
	v_fma_f16 v93, v2, 2.0, -v79
	v_sub_f16_e32 v2, v40, v59
	v_fma_f16 v66, v11, 2.0, -v58
	v_fma_f16 v11, v40, 2.0, -v2
	v_sub_f16_e32 v40, v47, v67
	v_sub_f16_e32 v15, v0, v27
	v_fma_f16 v12, v47, 2.0, -v40
	v_fma_f16 v0, v0, 2.0, -v15
	v_sub_f16_e32 v67, v11, v12
	v_sub_f16_e32 v46, v68, v80
	v_fma_f16 v80, v11, 2.0, -v67
	v_lshl_add_u32 v53, v17, 3, 0
	v_pack_b32_f16 v9, v9, v15
	v_pack_b32_f16 v0, v13, v0
	v_add_u32_e32 v11, 56, v17
	ds_write2_b32 v53, v0, v9 offset1:1
	v_lshl_add_u32 v54, v11, 3, 0
	v_pack_b32_f16 v0, v14, v82
	v_pack_b32_f16 v9, v81, v83
	v_add_u32_e32 v12, 0x70, v17
	ds_write2_b32 v54, v9, v0 offset1:1
	v_lshl_add_u32 v55, v12, 3, 0
	v_pack_b32_f16 v0, v62, v85
	v_pack_b32_f16 v9, v84, v86
	v_add_u32_e32 v13, 0xa8, v17
	ds_write2_b32 v55, v9, v0 offset1:1
	v_lshl_add_u32 v59, v13, 3, 0
	v_pack_b32_f16 v0, v63, v87
	v_pack_b32_f16 v9, v76, v88
	v_add_u32_e32 v14, 0xe0, v17
	ds_write2_b32 v59, v9, v0 offset1:1
	v_lshl_add_u32 v62, v14, 3, 0
	v_pack_b32_f16 v0, v64, v89
	v_pack_b32_f16 v9, v77, v90
	v_add_u32_e32 v15, 0x118, v17
	ds_write2_b32 v62, v9, v0 offset1:1
	v_lshl_add_u32 v63, v15, 3, 0
	v_pack_b32_f16 v0, v65, v91
	v_pack_b32_f16 v9, v78, v92
	ds_write2_b32 v63, v9, v0 offset1:1
	v_add_u32_e32 v0, 0x150, v17
	v_sub_f16_e32 v94, v2, v46
	v_lshl_add_u32 v64, v0, 3, 0
	v_pack_b32_f16 v9, v58, v79
	v_pack_b32_f16 v58, v66, v93
	v_fma_f16 v95, v2, 2.0, -v94
	ds_write2_b32 v64, v58, v9 offset1:1
	v_add_u32_e32 v9, 0x188, v17
	v_sub_f16_e32 v56, v36, v70
	v_sub_f16_e32 v35, v16, v74
	v_lshl_add_u32 v65, v9, 3, 0
	v_pack_b32_f16 v58, v67, v94
	v_pack_b32_f16 v66, v80, v95
	v_sub_f16_e32 v47, v33, v72
	v_sub_f16_e32 v2, v56, v35
	ds_write2_b32 v65, v66, v58 offset1:1
	v_cmp_gt_u32_e32 vcc, 42, v17
	v_lshl_add_u32 v58, v3, 3, 0
	s_and_saveexec_b64 s[2:3], vcc
	s_cbranch_execz .LBB0_17
; %bb.16:
	v_fma_f16 v36, v36, 2.0, -v56
	v_fma_f16 v33, v33, 2.0, -v47
	v_sub_f16_e32 v33, v36, v33
	v_fma_f16 v66, v56, 2.0, -v2
	v_fma_f16 v36, v36, 2.0, -v33
	s_mov_b32 s6, 0x5040100
	v_perm_b32 v33, v2, v33, s6
	v_pack_b32_f16 v36, v36, v66
	ds_write2_b32 v58, v36, v33 offset1:1
.LBB0_17:
	s_or_b64 exec, exec, s[2:3]
	v_sub_f16_e32 v19, v8, v19
	v_fma_f16 v8, v8, 2.0, -v19
	v_fma_f16 v18, v18, 2.0, -v27
	v_sub_f16_e32 v66, v8, v18
	v_add_f16_e32 v70, v19, v1
	v_sub_f16_e32 v1, v20, v22
	v_fma_f16 v67, v8, 2.0, -v66
	v_fma_f16 v8, v20, 2.0, -v1
	v_fma_f16 v18, v21, 2.0, -v71
	v_add_f16_e32 v76, v1, v26
	v_sub_f16_e32 v71, v8, v18
	v_fma_f16 v77, v1, 2.0, -v76
	v_sub_f16_e32 v1, v23, v30
	v_fma_f16 v74, v8, 2.0, -v71
	v_fma_f16 v8, v23, 2.0, -v1
	v_fma_f16 v18, v24, 2.0, -v73
	v_add_f16_e32 v79, v1, v28
	v_sub_f16_e32 v73, v8, v18
	v_fma_f16 v80, v1, 2.0, -v79
	;; [unrolled: 7-line block ×6, first 2 shown]
	v_sub_f16_e32 v1, v61, v69
	v_fma_f16 v92, v8, 2.0, -v60
	v_fma_f16 v8, v61, 2.0, -v1
	;; [unrolled: 1-line block ×3, first 2 shown]
	v_sub_f16_e32 v61, v8, v18
	v_add_f16_e32 v69, v1, v40
	v_sub_f16_e32 v57, v10, v25
	v_lshl_add_u32 v18, v17, 1, 0
	v_fma_f16 v72, v19, 2.0, -v70
	v_fma_f16 v68, v8, 2.0, -v61
	;; [unrolled: 1-line block ×3, first 2 shown]
	v_add_f16_e32 v8, v57, v47
	s_waitcnt lgkmcnt(0)
	; wave barrier
	s_waitcnt lgkmcnt(0)
	ds_read_u16 v37, v18 offset:3472
	ds_read_u16 v42, v18 offset:672
	;; [unrolled: 1-line block ×3, first 2 shown]
	ds_read_u16 v22, v18
	ds_read_u16 v21, v18 offset:112
	ds_read_u16 v20, v18 offset:224
	;; [unrolled: 1-line block ×31, first 2 shown]
	v_pack_b32_f16 v67, v67, v72
	v_pack_b32_f16 v66, v66, v70
	s_waitcnt lgkmcnt(0)
	; wave barrier
	s_waitcnt lgkmcnt(0)
	ds_write2_b32 v53, v67, v66 offset1:1
	v_pack_b32_f16 v53, v74, v77
	v_pack_b32_f16 v66, v71, v76
	ds_write2_b32 v54, v53, v66 offset1:1
	v_pack_b32_f16 v53, v78, v80
	v_pack_b32_f16 v54, v73, v79
	ds_write2_b32 v55, v53, v54 offset1:1
	v_pack_b32_f16 v53, v82, v84
	v_pack_b32_f16 v54, v81, v83
	ds_write2_b32 v59, v53, v54 offset1:1
	v_pack_b32_f16 v53, v85, v87
	v_pack_b32_f16 v54, v75, v86
	ds_write2_b32 v62, v53, v54 offset1:1
	v_pack_b32_f16 v53, v89, v91
	v_pack_b32_f16 v54, v88, v90
	ds_write2_b32 v63, v53, v54 offset1:1
	v_pack_b32_f16 v53, v92, v94
	v_pack_b32_f16 v54, v60, v93
	ds_write2_b32 v64, v53, v54 offset1:1
	v_pack_b32_f16 v53, v68, v95
	v_pack_b32_f16 v54, v61, v69
	ds_write2_b32 v65, v53, v54 offset1:1
	s_and_saveexec_b64 s[2:3], vcc
	s_cbranch_execz .LBB0_19
; %bb.18:
	v_fma_f16 v10, v10, 2.0, -v57
	v_fma_f16 v16, v16, 2.0, -v35
	v_sub_f16_e32 v16, v10, v16
	v_fma_f16 v10, v10, 2.0, -v16
	v_fma_f16 v35, v57, 2.0, -v8
	s_mov_b32 s6, 0x5040100
	v_perm_b32 v16, v8, v16, s6
	v_pack_b32_f16 v10, v10, v35
	ds_write2_b32 v58, v10, v16 offset1:1
.LBB0_19:
	s_or_b64 exec, exec, s[2:3]
	v_and_b32_e32 v16, 3, v17
	v_mul_u32_u24_e32 v10, 6, v16
	v_lshlrev_b32_e32 v10, 2, v10
	s_waitcnt lgkmcnt(0)
	; wave barrier
	s_waitcnt lgkmcnt(0)
	global_load_dwordx4 v[61:64], v10, s[12:13]
	global_load_dwordx2 v[117:118], v10, s[12:13] offset:16
	ds_read_u16 v10, v18 offset:3472
	ds_read_u16 v57, v18 offset:672
	;; [unrolled: 1-line block ×3, first 2 shown]
	ds_read_u16 v58, v18
	ds_read_u16 v55, v18 offset:112
	ds_read_u16 v54, v18 offset:224
	ds_read_u16 v53, v18 offset:336
	ds_read_u16 v60, v18 offset:896
	ds_read_u16 v65, v18 offset:1232
	ds_read_u16 v66, v18 offset:1344
	ds_read_u16 v67, v18 offset:1456
	ds_read_u16 v68, v18 offset:1792
	ds_read_u16 v69, v18 offset:1904
	ds_read_u16 v71, v18 offset:2016
	ds_read_u16 v70, v18 offset:2352
	ds_read_u16 v72, v18 offset:2464
	ds_read_u16 v74, v18 offset:2576
	ds_read_u16 v73, v18 offset:2912
	ds_read_u16 v75, v18 offset:3024
	ds_read_u16 v79, v18 offset:3136
	ds_read_u16 v76, v18 offset:560
	ds_read_u16 v35, v18 offset:448
	ds_read_u16 v77, v18 offset:1680
	ds_read_u16 v119, v18 offset:1568
	ds_read_u16 v78, v18 offset:1120
	ds_read_u16 v120, v18 offset:1008
	ds_read_u16 v80, v18 offset:2240
	ds_read_u16 v121, v18 offset:2128
	ds_read_u16 v81, v18 offset:3360
	ds_read_u16 v122, v18 offset:3248
	ds_read_u16 v82, v18 offset:2800
	ds_read_u16 v123, v18 offset:2688
	ds_read_u16 v83, v18 offset:3584
	ds_read_u16 v86, v18 offset:3696
	ds_read_u16 v124, v18 offset:3808
	s_movk_i32 s7, 0x2b26
	s_movk_i32 s6, 0x3b00
	s_mov_b32 s8, 0xbcab
	s_movk_i32 s9, 0x39e0
	s_mov_b32 s14, 0xb9e0
	;; [unrolled: 2-line block ×3, first 2 shown]
	s_movk_i32 s16, 0x370e
	s_waitcnt lgkmcnt(0)
	; wave barrier
	s_waitcnt lgkmcnt(0)
	v_cmp_gt_u32_e32 vcc, 28, v17
	s_waitcnt vmcnt(1)
	v_mul_f16_sdwa v97, v57, v61 dst_sel:DWORD dst_unused:UNUSED_PAD src0_sel:DWORD src1_sel:WORD_1
	s_waitcnt vmcnt(0)
	v_mul_f16_sdwa v93, v82, v117 dst_sel:DWORD dst_unused:UNUSED_PAD src0_sel:DWORD src1_sel:WORD_1
	v_mul_f16_sdwa v94, v56, v117 dst_sel:DWORD dst_unused:UNUSED_PAD src0_sel:DWORD src1_sel:WORD_1
	;; [unrolled: 1-line block ×5, first 2 shown]
	v_fma_f16 v113, v56, v117, -v93
	v_fma_f16 v93, v42, v61, -v97
	v_mul_f16_sdwa v42, v10, v118 dst_sel:DWORD dst_unused:UNUSED_PAD src0_sel:DWORD src1_sel:WORD_1
	v_mul_f16_sdwa v100, v44, v62 dst_sel:DWORD dst_unused:UNUSED_PAD src0_sel:DWORD src1_sel:WORD_1
	;; [unrolled: 1-line block ×3, first 2 shown]
	v_fma_f16 v114, v82, v117, v94
	v_fma_f16 v94, v44, v62, -v99
	v_fma_f16 v99, v46, v64, -v103
	;; [unrolled: 1-line block ×3, first 2 shown]
	v_mul_f16_sdwa v37, v37, v118 dst_sel:DWORD dst_unused:UNUSED_PAD src0_sel:DWORD src1_sel:WORD_1
	v_mul_f16_sdwa v88, v52, v62 dst_sel:DWORD dst_unused:UNUSED_PAD src0_sel:DWORD src1_sel:WORD_1
	v_fma_f16 v97, v65, v62, v100
	v_fma_f16 v100, v70, v64, v104
	;; [unrolled: 1-line block ×3, first 2 shown]
	v_mul_f16_sdwa v10, v59, v61 dst_sel:DWORD dst_unused:UNUSED_PAD src0_sel:DWORD src1_sel:WORD_1
	v_mul_f16_sdwa v87, v78, v62 dst_sel:DWORD dst_unused:UNUSED_PAD src0_sel:DWORD src1_sel:WORD_1
	;; [unrolled: 1-line block ×3, first 2 shown]
	v_fma_f16 v109, v78, v62, v88
	v_fma_f16 v78, v36, v61, -v10
	v_mul_f16_sdwa v10, v36, v61 dst_sel:DWORD dst_unused:UNUSED_PAD src0_sel:DWORD src1_sel:WORD_1
	v_mul_f16_sdwa v92, v51, v64 dst_sel:DWORD dst_unused:UNUSED_PAD src0_sel:DWORD src1_sel:WORD_1
	;; [unrolled: 1-line block ×3, first 2 shown]
	v_fma_f16 v116, v81, v118, v96
	v_fma_f16 v81, v59, v61, v10
	v_mul_f16_sdwa v10, v66, v62 dst_sel:DWORD dst_unused:UNUSED_PAD src0_sel:DWORD src1_sel:WORD_1
	v_mul_f16_sdwa v84, v76, v61 dst_sel:DWORD dst_unused:UNUSED_PAD src0_sel:DWORD src1_sel:WORD_1
	v_mul_f16_sdwa v91, v80, v64 dst_sel:DWORD dst_unused:UNUSED_PAD src0_sel:DWORD src1_sel:WORD_1
	v_fma_f16 v112, v80, v64, v92
	v_fma_f16 v80, v41, v62, -v10
	v_mul_f16_sdwa v10, v41, v62 dst_sel:DWORD dst_unused:UNUSED_PAD src0_sel:DWORD src1_sel:WORD_1
	v_fma_f16 v105, v49, v61, -v84
	v_fma_f16 v84, v66, v62, v10
	v_mul_f16_sdwa v10, v69, v63 dst_sel:DWORD dst_unused:UNUSED_PAD src0_sel:DWORD src1_sel:WORD_1
	v_mul_f16_sdwa v85, v49, v61 dst_sel:DWORD dst_unused:UNUSED_PAD src0_sel:DWORD src1_sel:WORD_1
	v_fma_f16 v82, v40, v63, -v10
	v_mul_f16_sdwa v10, v40, v63 dst_sel:DWORD dst_unused:UNUSED_PAD src0_sel:DWORD src1_sel:WORD_1
	v_fma_f16 v108, v76, v61, v85
	v_fma_f16 v85, v69, v63, v10
	v_mul_f16_sdwa v10, v72, v64 dst_sel:DWORD dst_unused:UNUSED_PAD src0_sel:DWORD src1_sel:WORD_1
	v_fma_f16 v106, v52, v62, -v87
	v_fma_f16 v87, v39, v64, -v10
	v_mul_f16_sdwa v10, v39, v64 dst_sel:DWORD dst_unused:UNUSED_PAD src0_sel:DWORD src1_sel:WORD_1
	v_mul_f16_sdwa v89, v77, v63 dst_sel:DWORD dst_unused:UNUSED_PAD src0_sel:DWORD src1_sel:WORD_1
	v_fma_f16 v88, v72, v64, v10
	v_mul_f16_sdwa v10, v75, v117 dst_sel:DWORD dst_unused:UNUSED_PAD src0_sel:DWORD src1_sel:WORD_1
	v_mul_f16_sdwa v90, v48, v63 dst_sel:DWORD dst_unused:UNUSED_PAD src0_sel:DWORD src1_sel:WORD_1
	v_fma_f16 v107, v48, v63, -v89
	v_fma_f16 v89, v38, v117, -v10
	v_mul_f16_sdwa v10, v38, v117 dst_sel:DWORD dst_unused:UNUSED_PAD src0_sel:DWORD src1_sel:WORD_1
	v_fma_f16 v110, v77, v63, v90
	v_fma_f16 v90, v75, v117, v10
	v_mul_f16_sdwa v10, v83, v118 dst_sel:DWORD dst_unused:UNUSED_PAD src0_sel:DWORD src1_sel:WORD_1
	v_fma_f16 v111, v51, v64, -v91
	v_fma_f16 v91, v43, v118, -v10
	v_mul_f16_sdwa v10, v43, v118 dst_sel:DWORD dst_unused:UNUSED_PAD src0_sel:DWORD src1_sel:WORD_1
	v_fma_f16 v92, v83, v118, v10
	v_mul_f16_sdwa v10, v60, v61 dst_sel:DWORD dst_unused:UNUSED_PAD src0_sel:DWORD src1_sel:WORD_1
	v_fma_f16 v66, v33, v61, -v10
	v_mul_f16_sdwa v10, v33, v61 dst_sel:DWORD dst_unused:UNUSED_PAD src0_sel:DWORD src1_sel:WORD_1
	v_mul_f16_sdwa v102, v45, v63 dst_sel:DWORD dst_unused:UNUSED_PAD src0_sel:DWORD src1_sel:WORD_1
	v_fma_f16 v69, v60, v61, v10
	v_mul_f16_sdwa v10, v67, v62 dst_sel:DWORD dst_unused:UNUSED_PAD src0_sel:DWORD src1_sel:WORD_1
	v_mul_f16_sdwa v101, v68, v63 dst_sel:DWORD dst_unused:UNUSED_PAD src0_sel:DWORD src1_sel:WORD_1
	v_fma_f16 v96, v57, v61, v98
	v_fma_f16 v98, v68, v63, v102
	v_fma_f16 v68, v32, v62, -v10
	v_mul_f16_sdwa v10, v32, v62 dst_sel:DWORD dst_unused:UNUSED_PAD src0_sel:DWORD src1_sel:WORD_1
	v_fma_f16 v72, v67, v62, v10
	v_mul_f16_sdwa v10, v71, v63 dst_sel:DWORD dst_unused:UNUSED_PAD src0_sel:DWORD src1_sel:WORD_1
	v_mul_f16_sdwa v126, v47, v117 dst_sel:DWORD dst_unused:UNUSED_PAD src0_sel:DWORD src1_sel:WORD_1
	v_fma_f16 v70, v31, v63, -v10
	v_mul_f16_sdwa v10, v31, v63 dst_sel:DWORD dst_unused:UNUSED_PAD src0_sel:DWORD src1_sel:WORD_1
	v_mul_f16_sdwa v125, v73, v117 dst_sel:DWORD dst_unused:UNUSED_PAD src0_sel:DWORD src1_sel:WORD_1
	v_fma_f16 v102, v73, v117, v126
	v_fma_f16 v73, v71, v63, v10
	v_mul_f16_sdwa v10, v74, v64 dst_sel:DWORD dst_unused:UNUSED_PAD src0_sel:DWORD src1_sel:WORD_1
	v_fma_f16 v75, v30, v64, -v10
	v_mul_f16_sdwa v10, v30, v64 dst_sel:DWORD dst_unused:UNUSED_PAD src0_sel:DWORD src1_sel:WORD_1
	v_fma_f16 v76, v74, v64, v10
	v_mul_f16_sdwa v10, v79, v117 dst_sel:DWORD dst_unused:UNUSED_PAD src0_sel:DWORD src1_sel:WORD_1
	v_fma_f16 v77, v28, v117, -v10
	v_mul_f16_sdwa v10, v28, v117 dst_sel:DWORD dst_unused:UNUSED_PAD src0_sel:DWORD src1_sel:WORD_1
	;; [unrolled: 4-line block ×6, first 2 shown]
	v_fma_f16 v62, v121, v63, v10
	v_mul_f16_sdwa v10, v123, v64 dst_sel:DWORD dst_unused:UNUSED_PAD src0_sel:DWORD src1_sel:WORD_1
	v_fma_f16 v115, v50, v118, -v95
	v_fma_f16 v95, v45, v63, -v101
	;; [unrolled: 1-line block ×3, first 2 shown]
	v_mul_f16_sdwa v10, v27, v64 dst_sel:DWORD dst_unused:UNUSED_PAD src0_sel:DWORD src1_sel:WORD_1
	v_fma_f16 v64, v123, v64, v10
	v_mul_f16_sdwa v10, v122, v117 dst_sel:DWORD dst_unused:UNUSED_PAD src0_sel:DWORD src1_sel:WORD_1
	v_fma_f16 v65, v23, v117, -v10
	v_mul_f16_sdwa v10, v23, v117 dst_sel:DWORD dst_unused:UNUSED_PAD src0_sel:DWORD src1_sel:WORD_1
	v_fma_f16 v67, v122, v117, v10
	v_mul_f16_sdwa v10, v124, v118 dst_sel:DWORD dst_unused:UNUSED_PAD src0_sel:DWORD src1_sel:WORD_1
	v_fma_f16 v71, v24, v118, -v10
	v_mul_f16_sdwa v10, v24, v118 dst_sel:DWORD dst_unused:UNUSED_PAD src0_sel:DWORD src1_sel:WORD_1
	v_fma_f16 v74, v124, v118, v10
	v_add_f16_e32 v10, v105, v115
	v_add_f16_e32 v24, v106, v113
	v_sub_f16_e32 v23, v108, v116
	v_sub_f16_e32 v25, v109, v114
	v_add_f16_e32 v26, v107, v111
	v_sub_f16_e32 v27, v112, v110
	v_add_f16_e32 v28, v24, v10
	v_sub_f16_e32 v29, v24, v10
	v_sub_f16_e32 v10, v10, v26
	;; [unrolled: 1-line block ×3, first 2 shown]
	v_add_f16_e32 v30, v27, v25
	v_sub_f16_e32 v31, v27, v25
	v_sub_f16_e32 v25, v25, v23
	v_add_f16_e32 v26, v26, v28
	v_sub_f16_e32 v27, v23, v27
	v_add_f16_e32 v23, v30, v23
	v_add_f16_e32 v22, v22, v26
	v_mul_f16_e32 v10, 0x3a52, v10
	v_mul_f16_e32 v28, 0x2b26, v24
	;; [unrolled: 1-line block ×4, first 2 shown]
	v_fma_f16 v26, v26, s8, v22
	v_fma_f16 v24, v24, s7, v10
	v_fma_f16 v28, v29, s9, -v28
	v_fma_f16 v10, v29, s14, -v10
	v_fma_f16 v29, v27, s15, v30
	v_fma_f16 v25, v25, s6, -v30
	v_fma_f16 v27, v27, s17, -v31
	;; [unrolled: 1-line block ×3, first 2 shown]
	v_add_f16_e32 v24, v24, v26
	v_add_f16_e32 v28, v28, v26
	v_add_f16_e32 v10, v10, v26
	v_fma_f16 v26, v23, s16, v29
	v_fma_f16 v25, v23, s16, v25
	v_fma_f16 v23, v23, s16, v27
	v_add_f16_e32 v29, v23, v10
	v_sub_f16_e32 v30, v28, v25
	v_add_f16_e32 v25, v25, v28
	v_sub_f16_e32 v23, v10, v23
	v_add_f16_e32 v10, v93, v103
	v_add_f16_e32 v28, v94, v101
	v_add_f16_e32 v27, v26, v24
	v_sub_f16_e32 v24, v24, v26
	v_sub_f16_e32 v26, v96, v104
	v_sub_f16_e32 v31, v97, v102
	v_add_f16_e32 v32, v95, v99
	v_sub_f16_e32 v33, v100, v98
	v_add_f16_e32 v34, v28, v10
	v_sub_f16_e32 v36, v28, v10
	v_sub_f16_e32 v10, v10, v32
	v_sub_f16_e32 v28, v32, v28
	v_add_f16_e32 v37, v33, v31
	v_sub_f16_e32 v38, v33, v31
	v_sub_f16_e32 v31, v31, v26
	v_add_f16_e32 v32, v32, v34
	v_sub_f16_e32 v33, v26, v33
	v_add_f16_e32 v26, v37, v26
	v_add_f16_e32 v21, v21, v32
	v_mul_f16_e32 v10, 0x3a52, v10
	v_mul_f16_e32 v34, 0x2b26, v28
	v_mul_f16_e32 v37, 0xb846, v38
	v_mul_f16_e32 v38, 0x3b00, v31
	v_fma_f16 v32, v32, s8, v21
	v_fma_f16 v28, v28, s7, v10
	v_fma_f16 v34, v36, s9, -v34
	v_fma_f16 v10, v36, s14, -v10
	v_fma_f16 v36, v33, s15, v37
	v_fma_f16 v31, v31, s6, -v37
	v_fma_f16 v33, v33, s17, -v38
	v_add_f16_e32 v28, v28, v32
	v_add_f16_e32 v34, v34, v32
	v_add_f16_e32 v10, v10, v32
	v_fma_f16 v32, v26, s16, v36
	v_fma_f16 v31, v26, s16, v31
	v_fma_f16 v26, v26, s16, v33
	v_add_f16_e32 v36, v26, v10
	v_sub_f16_e32 v37, v34, v31
	v_add_f16_e32 v31, v31, v34
	v_sub_f16_e32 v26, v10, v26
	v_add_f16_e32 v10, v78, v91
	v_add_f16_e32 v34, v80, v89
	v_add_f16_e32 v33, v32, v28
	v_sub_f16_e32 v28, v28, v32
	v_sub_f16_e32 v32, v81, v92
	v_sub_f16_e32 v38, v84, v90
	v_add_f16_e32 v39, v82, v87
	v_sub_f16_e32 v40, v88, v85
	v_add_f16_e32 v41, v34, v10
	v_sub_f16_e32 v42, v34, v10
	v_sub_f16_e32 v10, v10, v39
	v_sub_f16_e32 v34, v39, v34
	v_add_f16_e32 v43, v40, v38
	v_sub_f16_e32 v44, v40, v38
	v_sub_f16_e32 v38, v38, v32
	v_add_f16_e32 v39, v39, v41
	v_sub_f16_e32 v40, v32, v40
	v_add_f16_e32 v32, v43, v32
	v_add_f16_e32 v20, v20, v39
	v_mul_f16_e32 v10, 0x3a52, v10
	v_mul_f16_e32 v41, 0x2b26, v34
	v_mul_f16_e32 v43, 0xb846, v44
	v_mul_f16_e32 v44, 0x3b00, v38
	v_fma_f16 v39, v39, s8, v20
	v_fma_f16 v34, v34, s7, v10
	v_fma_f16 v41, v42, s9, -v41
	v_fma_f16 v10, v42, s14, -v10
	v_fma_f16 v42, v40, s15, v43
	v_fma_f16 v38, v38, s6, -v43
	v_fma_f16 v40, v40, s17, -v44
	;; [unrolled: 40-line block ×4, first 2 shown]
	v_add_f16_e32 v47, v47, v51
	v_add_f16_e32 v117, v117, v51
	;; [unrolled: 1-line block ×3, first 2 shown]
	v_fma_f16 v51, v45, s16, v118
	v_fma_f16 v50, v45, s16, v50
	;; [unrolled: 1-line block ×3, first 2 shown]
	v_add_f16_e32 v52, v51, v47
	v_add_f16_e32 v122, v45, v10
	v_sub_f16_e32 v45, v10, v45
	v_sub_f16_e32 v10, v47, v51
	v_lshrrev_b32_e32 v47, 2, v17
	v_mul_u32_u24_e32 v47, 28, v47
	v_or_b32_e32 v47, v47, v16
	v_sub_f16_e32 v123, v117, v50
	v_add_f16_e32 v50, v50, v117
	v_lshl_add_u32 v117, v47, 1, 0
	ds_write_b16 v117, v22
	ds_write_b16 v117, v27 offset:8
	ds_write_b16 v117, v29 offset:16
	ds_write_b16 v117, v30 offset:24
	ds_write_b16 v117, v25 offset:32
	ds_write_b16 v117, v23 offset:40
	ds_write_b16 v117, v24 offset:48
	v_lshrrev_b32_e32 v22, 2, v11
	v_mul_u32_u24_e32 v22, 28, v22
	v_or_b32_e32 v22, v22, v16
	v_lshl_add_u32 v118, v22, 1, 0
	ds_write_b16 v118, v21
	ds_write_b16 v118, v33 offset:8
	ds_write_b16 v118, v36 offset:16
	ds_write_b16 v118, v37 offset:24
	ds_write_b16 v118, v31 offset:32
	ds_write_b16 v118, v26 offset:40
	ds_write_b16 v118, v28 offset:48
	v_lshrrev_b32_e32 v21, 2, v12
	v_mul_u32_u24_e32 v21, 28, v21
	v_or_b32_e32 v21, v21, v16
	;; [unrolled: 11-line block ×4, first 2 shown]
	v_lshl_add_u32 v121, v16, 1, 0
	ds_write_b16 v121, v1
	ds_write_b16 v121, v52 offset:8
	ds_write_b16 v121, v122 offset:16
	;; [unrolled: 1-line block ×6, first 2 shown]
	s_waitcnt lgkmcnt(0)
	; wave barrier
	s_waitcnt lgkmcnt(0)
	ds_read_u16 v52, v18
	ds_read_u16 v51, v18 offset:112
	ds_read_u16 v43, v18 offset:224
	;; [unrolled: 1-line block ×15, first 2 shown]
	v_lshl_add_u32 v1, v3, 1, 0
	ds_read_u16 v20, v18 offset:2856
	ds_read_u16 v21, v18 offset:2968
	;; [unrolled: 1-line block ×16, first 2 shown]
	ds_read_u16 v50, v1
	ds_read_u16 v34, v18 offset:3752
	s_and_saveexec_b64 s[2:3], vcc
	s_cbranch_execz .LBB0_21
; %bb.20:
	ds_read_u16 v10, v18 offset:1904
	ds_read_u16 v2, v18 offset:3864
.LBB0_21:
	s_or_b64 exec, exec, s[2:3]
	v_add_f16_e32 v81, v81, v92
	v_add_f16_e32 v84, v84, v90
	;; [unrolled: 1-line block ×10, first 2 shown]
	v_sub_f16_e32 v78, v78, v91
	v_sub_f16_e32 v80, v80, v89
	v_add_f16_e32 v85, v85, v88
	v_sub_f16_e32 v82, v87, v82
	v_add_f16_e32 v87, v84, v81
	v_sub_f16_e32 v66, v66, v83
	v_sub_f16_e32 v68, v68, v77
	v_add_f16_e32 v73, v73, v76
	v_sub_f16_e32 v70, v75, v70
	v_add_f16_e32 v75, v72, v69
	;; [unrolled: 5-line block ×5, first 2 shown]
	v_sub_f16_e32 v88, v84, v81
	v_sub_f16_e32 v81, v81, v85
	v_sub_f16_e32 v84, v85, v84
	v_add_f16_e32 v89, v82, v80
	v_sub_f16_e32 v90, v82, v80
	v_sub_f16_e32 v80, v80, v78
	v_add_f16_e32 v85, v85, v87
	v_sub_f16_e32 v76, v72, v69
	v_sub_f16_e32 v69, v69, v73
	v_sub_f16_e32 v72, v73, v72
	v_add_f16_e32 v77, v70, v68
	v_sub_f16_e32 v79, v70, v68
	v_sub_f16_e32 v68, v68, v66
	v_add_f16_e32 v73, v73, v75
	;; [unrolled: 7-line block ×5, first 2 shown]
	v_sub_f16_e32 v82, v78, v82
	v_add_f16_e32 v78, v89, v78
	v_add_f16_e32 v54, v54, v85
	v_mul_f16_e32 v81, 0x3a52, v81
	v_mul_f16_e32 v87, 0x2b26, v84
	v_mul_f16_e32 v89, 0xb846, v90
	v_mul_f16_e32 v90, 0x3b00, v80
	v_sub_f16_e32 v70, v66, v70
	v_add_f16_e32 v66, v77, v66
	v_add_f16_e32 v53, v53, v73
	v_mul_f16_e32 v69, 0x3a52, v69
	v_mul_f16_e32 v75, 0x2b26, v72
	v_mul_f16_e32 v77, 0xb846, v79
	v_mul_f16_e32 v79, 0x3b00, v68
	;; [unrolled: 7-line block ×5, first 2 shown]
	v_fma_f16 v85, v85, s8, v54
	v_fma_f16 v84, v84, s7, v81
	v_fma_f16 v87, v88, s9, -v87
	v_fma_f16 v81, v88, s14, -v81
	v_fma_f16 v88, v82, s15, v89
	v_fma_f16 v80, v80, s6, -v89
	v_fma_f16 v82, v82, s17, -v90
	v_fma_f16 v73, v73, s8, v53
	v_fma_f16 v72, v72, s7, v69
	v_fma_f16 v75, v76, s9, -v75
	v_fma_f16 v69, v76, s14, -v69
	v_fma_f16 v76, v70, s15, v77
	v_fma_f16 v68, v68, s6, -v77
	v_fma_f16 v70, v70, s17, -v79
	;; [unrolled: 7-line block ×5, first 2 shown]
	v_add_f16_e32 v84, v84, v85
	v_add_f16_e32 v87, v87, v85
	v_add_f16_e32 v81, v81, v85
	v_fma_f16 v85, v78, s16, v88
	v_fma_f16 v80, v78, s16, v80
	v_fma_f16 v78, v78, s16, v82
	v_add_f16_e32 v72, v72, v73
	v_add_f16_e32 v75, v75, v73
	v_add_f16_e32 v69, v69, v73
	v_fma_f16 v73, v66, s16, v76
	v_fma_f16 v68, v66, s16, v68
	v_fma_f16 v66, v66, s16, v70
	;; [unrolled: 6-line block ×5, first 2 shown]
	v_sub_f16_e32 v82, v84, v85
	v_sub_f16_e32 v88, v81, v78
	v_add_f16_e32 v89, v80, v87
	v_sub_f16_e32 v80, v87, v80
	v_add_f16_e32 v78, v78, v81
	v_add_f16_e32 v81, v85, v84
	v_sub_f16_e32 v70, v72, v73
	v_sub_f16_e32 v76, v69, v66
	v_add_f16_e32 v77, v68, v75
	v_sub_f16_e32 v68, v75, v68
	v_add_f16_e32 v66, v66, v69
	v_add_f16_e32 v69, v73, v72
	v_sub_f16_e32 v60, v61, v62
	v_sub_f16_e32 v64, v35, v56
	v_add_f16_e32 v65, v57, v59
	v_sub_f16_e32 v57, v59, v57
	v_add_f16_e32 v56, v56, v35
	v_sub_f16_e32 v107, v109, v110
	v_sub_f16_e32 v112, v108, v105
	v_add_f16_e32 v113, v106, v111
	v_sub_f16_e32 v106, v111, v106
	v_add_f16_e32 v105, v105, v108
	v_add_f16_e32 v108, v110, v109
	v_sub_f16_e32 v95, v97, v98
	v_sub_f16_e32 v100, v96, v93
	v_add_f16_e32 v101, v94, v99
	v_sub_f16_e32 v94, v99, v94
	v_add_f16_e32 v93, v93, v96
	v_add_f16_e32 v96, v98, v97
	;; [unrolled: 1-line block ×3, first 2 shown]
	s_waitcnt lgkmcnt(0)
	; wave barrier
	s_waitcnt lgkmcnt(0)
	ds_write_b16 v117, v58
	ds_write_b16 v117, v107 offset:8
	ds_write_b16 v117, v112 offset:16
	ds_write_b16 v117, v113 offset:24
	ds_write_b16 v117, v106 offset:32
	ds_write_b16 v117, v105 offset:40
	ds_write_b16 v117, v108 offset:48
	ds_write_b16 v118, v55
	ds_write_b16 v118, v95 offset:8
	ds_write_b16 v118, v100 offset:16
	ds_write_b16 v118, v101 offset:24
	ds_write_b16 v118, v94 offset:32
	ds_write_b16 v118, v93 offset:40
	ds_write_b16 v118, v96 offset:48
	;; [unrolled: 7-line block ×5, first 2 shown]
	s_waitcnt lgkmcnt(0)
	; wave barrier
	s_waitcnt lgkmcnt(0)
	ds_read_u16 v53, v18
	ds_read_u16 v54, v18 offset:112
	ds_read_u16 v55, v18 offset:224
	;; [unrolled: 1-line block ×31, first 2 shown]
	ds_read_u16 v69, v1
	ds_read_u16 v86, v18 offset:3752
	s_and_saveexec_b64 s[2:3], vcc
	s_cbranch_execz .LBB0_23
; %bb.22:
	ds_read_u16 v35, v18 offset:1904
	ds_read_u16 v8, v18 offset:3864
.LBB0_23:
	s_or_b64 exec, exec, s[2:3]
	v_subrev_u32_e32 v87, 28, v17
	v_cndmask_b32_e32 v94, v87, v17, vcc
	v_mov_b32_e32 v95, 0
	v_lshlrev_b64 v[87:88], 2, v[94:95]
	v_mov_b32_e32 v89, s13
	v_add_co_u32_e64 v95, s[2:3], s12, v87
	v_addc_co_u32_e64 v96, s[2:3], v89, v88, s[2:3]
	v_lshrrev_b16_e32 v87, 2, v11
	v_lshrrev_b16_e32 v89, 2, v12
	v_and_b32_e32 v87, 63, v87
	v_and_b32_e32 v89, 63, v89
	v_mul_lo_u16_e32 v104, 37, v87
	v_mov_b32_e32 v87, 28
	v_mul_lo_u16_e32 v106, 37, v89
	v_mul_lo_u16_sdwa v89, v106, v87 dst_sel:DWORD dst_unused:UNUSED_PAD src0_sel:BYTE_1 src1_sel:DWORD
	v_sub_u16_e32 v107, v12, v89
	v_lshrrev_b16_e32 v89, 2, v13
	v_and_b32_e32 v89, 63, v89
	v_mul_lo_u16_e32 v108, 37, v89
	v_mul_lo_u16_sdwa v88, v104, v87 dst_sel:DWORD dst_unused:UNUSED_PAD src0_sel:BYTE_1 src1_sel:DWORD
	v_mul_lo_u16_sdwa v87, v108, v87 dst_sel:DWORD dst_unused:UNUSED_PAD src0_sel:BYTE_1 src1_sel:DWORD
	v_sub_u16_e32 v109, v13, v87
	v_lshrrev_b16_e32 v87, 2, v14
	v_mul_u32_u24_e32 v87, 0x4925, v87
	v_lshrrev_b32_e32 v110, 17, v87
	v_mul_lo_u16_e32 v87, 28, v110
	v_sub_u16_e32 v111, v14, v87
	v_lshrrev_b16_e32 v87, 2, v15
	v_mul_u32_u24_e32 v87, 0x4925, v87
	v_lshrrev_b32_e32 v112, 17, v87
	v_mul_lo_u16_e32 v87, 28, v112
	;; [unrolled: 5-line block ×4, first 2 shown]
	v_sub_u16_e32 v105, v11, v88
	v_mov_b32_e32 v88, 2
	v_sub_u16_e32 v117, v9, v87
	v_lshlrev_b32_sdwa v97, v88, v105 dst_sel:DWORD dst_unused:UNUSED_PAD src0_sel:DWORD src1_sel:BYTE_0
	v_lshlrev_b32_sdwa v98, v88, v107 dst_sel:DWORD dst_unused:UNUSED_PAD src0_sel:DWORD src1_sel:BYTE_0
	v_lshlrev_b32_sdwa v99, v88, v109 dst_sel:DWORD dst_unused:UNUSED_PAD src0_sel:DWORD src1_sel:BYTE_0
	v_lshlrev_b32_e32 v100, 2, v111
	v_lshlrev_b32_e32 v101, 2, v113
	;; [unrolled: 1-line block ×4, first 2 shown]
	global_load_dword v93, v[95:96], off offset:96
	global_load_dword v92, v97, s[12:13] offset:96
	global_load_dword v91, v98, s[12:13] offset:96
	;; [unrolled: 1-line block ×7, first 2 shown]
	v_lshrrev_b16_e32 v95, 2, v3
	v_mul_u32_u24_e32 v95, 0x4925, v95
	v_lshrrev_b32_e32 v118, 17, v95
	v_mul_lo_u16_e32 v95, 28, v118
	v_sub_u16_e32 v119, v3, v95
	v_add_u16_e32 v95, 0x1f8, v17
	v_lshrrev_b16_e32 v96, 2, v95
	v_mul_u32_u24_e32 v96, 0x4925, v96
	v_lshrrev_b32_e32 v120, 17, v96
	v_mul_lo_u16_e32 v96, 28, v120
	v_sub_u16_e32 v121, v95, v96
	v_add_u16_e32 v96, 0x230, v17
	;; [unrolled: 6-line block ×6, first 2 shown]
	v_lshrrev_b16_e32 v101, 2, v99
	v_mul_u32_u24_e32 v101, 0x4925, v101
	v_lshrrev_b32_e32 v130, 17, v101
	v_mul_lo_u16_e32 v101, 28, v130
	v_add_u16_e32 v102, 0x348, v17
	v_sub_u16_e32 v131, v99, v101
	v_lshrrev_b16_e32 v99, 2, v102
	v_mul_u32_u24_e32 v103, 0x4925, v99
	v_lshlrev_b32_e32 v3, 2, v119
	v_lshlrev_b32_e32 v95, 2, v121
	;; [unrolled: 1-line block ×6, first 2 shown]
	v_lshrrev_b32_e32 v132, 17, v103
	global_load_dword v3, v3, s[12:13] offset:96
	v_lshlrev_b32_e32 v101, 2, v131
	global_load_dword v95, v95, s[12:13] offset:96
	v_cmp_lt_u32_e64 s[2:3], 27, v17
	global_load_dword v96, v96, s[12:13] offset:96
	v_lshlrev_b32_e32 v94, 1, v94
	global_load_dword v97, v97, s[12:13] offset:96
	s_nop 0
	global_load_dword v99, v98, s[12:13] offset:96
	s_nop 0
	global_load_dword v100, v100, s[12:13] offset:96
	v_mul_lo_u16_e32 v98, 28, v132
	v_sub_u16_e32 v133, v102, v98
	v_lshlrev_b32_e32 v98, 2, v133
	global_load_dword v102, v101, s[12:13] offset:96
	s_nop 0
	global_load_dword v101, v98, s[12:13] offset:96
	v_or_b32_e32 v98, 0x380, v17
	v_lshrrev_b16_e32 v103, 2, v98
	v_mul_u32_u24_e32 v103, 0x4925, v103
	v_lshrrev_b32_e32 v134, 17, v103
	v_mul_lo_u16_e32 v103, 28, v134
	v_sub_u16_e32 v135, v98, v103
	v_lshlrev_b32_e32 v98, 2, v135
	global_load_dword v103, v98, s[12:13] offset:96
	s_waitcnt vmcnt(16) lgkmcnt(14)
	v_mul_f16_sdwa v98, v85, v93 dst_sel:DWORD dst_unused:UNUSED_PAD src0_sel:DWORD src1_sel:WORD_1
	v_fma_f16 v136, v33, v93, -v98
	s_waitcnt vmcnt(15)
	v_mul_f16_sdwa v98, v84, v92 dst_sel:DWORD dst_unused:UNUSED_PAD src0_sel:DWORD src1_sel:WORD_1
	v_fma_f16 v137, v32, v92, -v98
	s_waitcnt vmcnt(14)
	;; [unrolled: 3-line block ×5, first 2 shown]
	v_mul_f16_sdwa v98, v80, v88 dst_sel:DWORD dst_unused:UNUSED_PAD src0_sel:DWORD src1_sel:WORD_1
	v_fma_f16 v141, v28, v88, -v98
	v_add_u16_e32 v98, 0x3b8, v17
	v_lshrrev_b16_e32 v142, 2, v98
	v_mul_u32_u24_e32 v142, 0x4925, v142
	v_lshrrev_b32_e32 v142, 17, v142
	v_mul_lo_u16_e32 v142, 28, v142
	v_sub_u16_e32 v142, v98, v142
	s_waitcnt vmcnt(10)
	v_mul_f16_sdwa v98, v79, v87 dst_sel:DWORD dst_unused:UNUSED_PAD src0_sel:DWORD src1_sel:WORD_1
	v_fma_f16 v143, v19, v87, -v98
	v_mov_b32_e32 v98, 0x70
	v_cndmask_b32_e64 v98, 0, v98, s[2:3]
	v_add3_u32 v98, 0, v98, v94
	v_lshlrev_b32_e32 v94, 2, v142
	global_load_dword v94, v94, s[12:13] offset:96
	v_sub_f16_e32 v136, v52, v136
	v_fma_f16 v52, v52, 2.0, -v136
	s_waitcnt lgkmcnt(0)
	; wave barrier
	s_waitcnt lgkmcnt(0)
	ds_write_b16 v98, v52
	s_waitcnt vmcnt(10)
	v_mul_f16_sdwa v52, v70, v9 dst_sel:DWORD dst_unused:UNUSED_PAD src0_sel:DWORD src1_sel:WORD_1
	s_movk_i32 s2, 0x70
	ds_write_b16 v98, v136 offset:56
	v_mov_b32_e32 v136, 1
	v_fma_f16 v144, v16, v9, -v52
	v_mul_u32_u24_sdwa v52, v104, s2 dst_sel:DWORD dst_unused:UNUSED_PAD src0_sel:BYTE_1 src1_sel:DWORD
	v_lshlrev_b32_sdwa v104, v136, v105 dst_sel:DWORD dst_unused:UNUSED_PAD src0_sel:DWORD src1_sel:BYTE_0
	v_add3_u32 v52, 0, v52, v104
	v_lshlrev_b32_sdwa v105, v136, v107 dst_sel:DWORD dst_unused:UNUSED_PAD src0_sel:DWORD src1_sel:BYTE_0
	v_mul_u32_u24_sdwa v108, v108, s2 dst_sel:DWORD dst_unused:UNUSED_PAD src0_sel:BYTE_1 src1_sel:DWORD
	s_waitcnt vmcnt(9)
	v_mul_f16_sdwa v104, v71, v3 dst_sel:DWORD dst_unused:UNUSED_PAD src0_sel:DWORD src1_sel:WORD_1
	v_fma_f16 v145, v20, v3, -v104
	v_sub_f16_e32 v104, v51, v137
	v_fma_f16 v51, v51, 2.0, -v104
	ds_write_b16 v52, v104 offset:56
	s_waitcnt vmcnt(7)
	v_mul_f16_sdwa v104, v73, v96 dst_sel:DWORD dst_unused:UNUSED_PAD src0_sel:DWORD src1_sel:WORD_1
	v_fma_f16 v137, v22, v96, -v104
	v_mul_u32_u24_sdwa v104, v106, s2 dst_sel:DWORD dst_unused:UNUSED_PAD src0_sel:BYTE_1 src1_sel:DWORD
	v_add3_u32 v104, 0, v104, v105
	s_waitcnt vmcnt(6)
	v_mul_f16_sdwa v105, v74, v97 dst_sel:DWORD dst_unused:UNUSED_PAD src0_sel:DWORD src1_sel:WORD_1
	v_fma_f16 v106, v23, v97, -v105
	v_sub_f16_e32 v105, v43, v138
	ds_write_b16 v52, v51
	v_fma_f16 v43, v43, 2.0, -v105
	ds_write_b16 v104, v105 offset:56
	s_waitcnt vmcnt(4)
	v_mul_f16_sdwa v105, v76, v100 dst_sel:DWORD dst_unused:UNUSED_PAD src0_sel:DWORD src1_sel:WORD_1
	v_fma_f16 v107, v25, v100, -v105
	v_lshlrev_b32_sdwa v105, v136, v109 dst_sel:DWORD dst_unused:UNUSED_PAD src0_sel:DWORD src1_sel:BYTE_0
	v_sub_f16_e32 v136, v40, v139
	v_sub_f16_e32 v138, v36, v140
	;; [unrolled: 1-line block ×8, first 2 shown]
	v_mul_u32_u24_e32 v106, 0x70, v110
	v_lshlrev_b32_e32 v107, 1, v111
	v_add3_u32 v105, 0, v108, v105
	v_fma_f16 v40, v40, 2.0, -v136
	v_fma_f16 v36, v36, 2.0, -v138
	v_add3_u32 v106, 0, v106, v107
	ds_write_b16 v104, v43
	ds_write_b16 v105, v40
	ds_write_b16 v105, v136 offset:56
	ds_write_b16 v106, v36
	ds_write_b16 v106, v138 offset:56
	v_mul_u32_u24_e32 v36, 0x70, v112
	v_lshlrev_b32_e32 v107, 1, v113
	s_waitcnt vmcnt(2)
	v_mul_f16_sdwa v108, v78, v101 dst_sel:DWORD dst_unused:UNUSED_PAD src0_sel:DWORD src1_sel:WORD_1
	v_fma_f16 v37, v37, 2.0, -v139
	v_add3_u32 v107, 0, v36, v107
	v_mul_f16_sdwa v109, v77, v102 dst_sel:DWORD dst_unused:UNUSED_PAD src0_sel:DWORD src1_sel:WORD_1
	v_fma_f16 v108, v27, v101, -v108
	ds_write_b16 v107, v37
	ds_write_b16 v107, v139 offset:56
	v_mul_u32_u24_e32 v36, 0x70, v114
	v_lshlrev_b32_e32 v37, 1, v115
	v_fma_f16 v109, v26, v102, -v109
	v_sub_f16_e32 v147, v42, v108
	v_add3_u32 v108, 0, v36, v37
	v_mul_u32_u24_e32 v36, 0x70, v116
	v_lshlrev_b32_e32 v37, 1, v117
	v_sub_f16_e32 v146, v44, v109
	v_add3_u32 v109, 0, v36, v37
	v_mul_u32_u24_e32 v36, 0x70, v118
	v_lshlrev_b32_e32 v37, 1, v119
	v_add3_u32 v110, 0, v36, v37
	v_mul_u32_u24_e32 v36, 0x70, v120
	v_lshlrev_b32_e32 v37, 1, v121
	;; [unrolled: 3-line block ×6, first 2 shown]
	v_mul_f16_sdwa v51, v72, v95 dst_sel:DWORD dst_unused:UNUSED_PAD src0_sel:DWORD src1_sel:WORD_1
	v_mul_f16_sdwa v43, v75, v99 dst_sel:DWORD dst_unused:UNUSED_PAD src0_sel:DWORD src1_sel:WORD_1
	s_waitcnt vmcnt(1)
	v_mul_f16_sdwa v40, v86, v103 dst_sel:DWORD dst_unused:UNUSED_PAD src0_sel:DWORD src1_sel:WORD_1
	v_add3_u32 v115, 0, v36, v37
	v_mul_u32_u24_e32 v36, 0x70, v130
	v_lshlrev_b32_e32 v37, 1, v131
	v_fma_f16 v51, v21, v95, -v51
	v_fma_f16 v43, v24, v99, -v43
	;; [unrolled: 1-line block ×3, first 2 shown]
	v_add3_u32 v117, 0, v36, v37
	v_mul_u32_u24_e32 v36, 0x70, v132
	v_lshlrev_b32_e32 v37, 1, v133
	v_sub_f16_e32 v51, v49, v51
	v_sub_f16_e32 v137, v48, v137
	v_sub_f16_e32 v43, v46, v43
	v_sub_f16_e32 v40, v41, v40
	v_add3_u32 v118, 0, v36, v37
	v_mul_u32_u24_e32 v36, 0x70, v134
	v_lshlrev_b32_e32 v37, 1, v135
	v_fma_f16 v38, v38, 2.0, -v140
	v_fma_f16 v39, v39, 2.0, -v141
	v_fma_f16 v50, v50, 2.0, -v143
	v_fma_f16 v49, v49, 2.0, -v51
	v_fma_f16 v48, v48, 2.0, -v137
	v_fma_f16 v47, v47, 2.0, -v144
	v_fma_f16 v46, v46, 2.0, -v43
	v_fma_f16 v45, v45, 2.0, -v145
	v_fma_f16 v44, v44, 2.0, -v146
	v_fma_f16 v42, v42, 2.0, -v147
	v_fma_f16 v41, v41, 2.0, -v40
	v_add3_u32 v119, 0, v36, v37
	v_lshl_add_u32 v116, v142, 1, 0
	ds_write_b16 v108, v38
	ds_write_b16 v108, v140 offset:56
	ds_write_b16 v109, v39
	ds_write_b16 v109, v141 offset:56
	;; [unrolled: 2-line block ×11, first 2 shown]
	s_and_saveexec_b64 s[2:3], vcc
	s_cbranch_execz .LBB0_25
; %bb.24:
	s_waitcnt vmcnt(0)
	v_mul_f16_sdwa v36, v8, v94 dst_sel:DWORD dst_unused:UNUSED_PAD src0_sel:DWORD src1_sel:WORD_1
	v_fma_f16 v36, v2, v94, -v36
	v_sub_f16_e32 v36, v10, v36
	v_fma_f16 v10, v10, 2.0, -v36
	ds_write_b16 v116, v10 offset:3808
	ds_write_b16 v116, v36 offset:3864
.LBB0_25:
	s_or_b64 exec, exec, s[2:3]
	v_mul_f16_sdwa v16, v16, v9 dst_sel:DWORD dst_unused:UNUSED_PAD src0_sel:DWORD src1_sel:WORD_1
	v_mul_f16_sdwa v10, v33, v93 dst_sel:DWORD dst_unused:UNUSED_PAD src0_sel:DWORD src1_sel:WORD_1
	;; [unrolled: 1-line block ×3, first 2 shown]
	v_fma_f16 v9, v70, v9, v16
	v_mul_f16_sdwa v16, v20, v3 dst_sel:DWORD dst_unused:UNUSED_PAD src0_sel:DWORD src1_sel:WORD_1
	v_fma_f16 v10, v85, v93, v10
	v_fma_f16 v32, v84, v92, v32
	v_mul_f16_sdwa v31, v31, v91 dst_sel:DWORD dst_unused:UNUSED_PAD src0_sel:DWORD src1_sel:WORD_1
	v_mul_f16_sdwa v30, v30, v90 dst_sel:DWORD dst_unused:UNUSED_PAD src0_sel:DWORD src1_sel:WORD_1
	v_mul_f16_sdwa v29, v29, v89 dst_sel:DWORD dst_unused:UNUSED_PAD src0_sel:DWORD src1_sel:WORD_1
	v_mul_f16_sdwa v28, v28, v88 dst_sel:DWORD dst_unused:UNUSED_PAD src0_sel:DWORD src1_sel:WORD_1
	v_fma_f16 v3, v71, v3, v16
	v_mul_f16_sdwa v16, v21, v95 dst_sel:DWORD dst_unused:UNUSED_PAD src0_sel:DWORD src1_sel:WORD_1
	v_mul_f16_sdwa v20, v22, v96 dst_sel:DWORD dst_unused:UNUSED_PAD src0_sel:DWORD src1_sel:WORD_1
	;; [unrolled: 1-line block ×8, first 2 shown]
	v_fma_f16 v31, v83, v91, v31
	v_fma_f16 v30, v82, v90, v30
	;; [unrolled: 1-line block ×4, first 2 shown]
	v_mul_f16_sdwa v19, v19, v87 dst_sel:DWORD dst_unused:UNUSED_PAD src0_sel:DWORD src1_sel:WORD_1
	v_fma_f16 v16, v72, v95, v16
	v_fma_f16 v21, v74, v97, v21
	;; [unrolled: 1-line block ×7, first 2 shown]
	v_sub_f16_e32 v70, v53, v10
	v_sub_f16_e32 v72, v54, v32
	v_fma_f16 v19, v79, v87, v19
	v_fma_f16 v20, v73, v96, v20
	v_fma_f16 v71, v53, 2.0, -v70
	v_fma_f16 v73, v54, 2.0, -v72
	v_sub_f16_e32 v74, v55, v31
	v_sub_f16_e32 v75, v56, v30
	v_sub_f16_e32 v76, v57, v29
	v_sub_f16_e32 v77, v58, v28
	v_sub_f16_e32 v78, v60, v9
	v_sub_f16_e32 v79, v69, v3
	v_sub_f16_e32 v80, v66, v21
	v_sub_f16_e32 v81, v65, v22
	v_sub_f16_e32 v82, v64, v23
	v_sub_f16_e32 v83, v63, v24
	v_sub_f16_e32 v84, v62, v25
	v_sub_f16_e32 v85, v61, v26
	s_waitcnt lgkmcnt(0)
	; wave barrier
	s_waitcnt lgkmcnt(0)
	ds_read_u16 v37, v18 offset:3472
	ds_read_u16 v46, v18 offset:672
	;; [unrolled: 1-line block ×3, first 2 shown]
	ds_read_u16 v22, v18
	ds_read_u16 v21, v18 offset:112
	ds_read_u16 v10, v18 offset:224
	;; [unrolled: 1-line block ×31, first 2 shown]
	v_sub_f16_e32 v19, v59, v19
	v_sub_f16_e32 v16, v68, v16
	;; [unrolled: 1-line block ×3, first 2 shown]
	v_fma_f16 v55, v55, 2.0, -v74
	v_fma_f16 v56, v56, 2.0, -v75
	;; [unrolled: 1-line block ×15, first 2 shown]
	s_waitcnt lgkmcnt(0)
	; wave barrier
	s_waitcnt lgkmcnt(0)
	ds_write_b16 v98, v71
	ds_write_b16 v98, v70 offset:56
	ds_write_b16 v52, v73
	ds_write_b16 v52, v72 offset:56
	;; [unrolled: 2-line block ×17, first 2 shown]
	s_and_saveexec_b64 s[2:3], vcc
	s_cbranch_execz .LBB0_27
; %bb.26:
	s_waitcnt vmcnt(0)
	v_mul_f16_sdwa v2, v2, v94 dst_sel:DWORD dst_unused:UNUSED_PAD src0_sel:DWORD src1_sel:WORD_1
	v_fma_f16 v2, v8, v94, v2
	v_sub_f16_e32 v2, v35, v2
	v_fma_f16 v8, v35, 2.0, -v2
	ds_write_b16 v116, v8 offset:3808
	ds_write_b16 v116, v2 offset:3864
.LBB0_27:
	s_or_b64 exec, exec, s[2:3]
	v_mul_u32_u24_e32 v2, 6, v17
	v_lshlrev_b32_e32 v2, 2, v2
	s_waitcnt lgkmcnt(0)
	; wave barrier
	s_waitcnt lgkmcnt(0)
	global_load_dwordx4 v[55:58], v2, s[12:13] offset:208
	global_load_dwordx2 v[71:72], v2, s[12:13] offset:224
	v_lshrrev_b16_e32 v2, 3, v12
	v_and_b32_e32 v2, 31, v2
	v_mov_b32_e32 v16, 56
	v_mul_lo_u16_e32 v2, 37, v2
	v_mul_lo_u16_sdwa v2, v2, v16 dst_sel:DWORD dst_unused:UNUSED_PAD src0_sel:BYTE_1 src1_sel:DWORD
	v_sub_u16_e32 v2, v12, v2
	v_and_b32_e32 v2, 0xff, v2
	v_mul_u32_u24_e32 v19, 6, v2
	v_lshlrev_b32_e32 v19, 2, v19
	ds_read_u16 v35, v18 offset:3472
	ds_read_u16 v52, v18 offset:672
	;; [unrolled: 1-line block ×3, first 2 shown]
	ds_read_u16 v78, v18
	ds_read_u16 v79, v18 offset:112
	ds_read_u16 v80, v18 offset:224
	;; [unrolled: 1-line block ×18, first 2 shown]
	global_load_dwordx4 v[59:62], v19, s[12:13] offset:208
	v_lshrrev_b16_e32 v63, 3, v13
	v_and_b32_e32 v63, 31, v63
	ds_read_u16 v68, v18 offset:1680
	s_waitcnt vmcnt(3)
	ds_read_u16 v94, v18 offset:1568
	ds_read_u16 v69, v18 offset:1120
	;; [unrolled: 1-line block ×12, first 2 shown]
	global_load_dwordx2 v[73:74], v19, s[12:13] offset:224
	v_mul_lo_u16_e32 v19, 37, v63
	v_mul_lo_u16_sdwa v19, v19, v16 dst_sel:DWORD dst_unused:UNUSED_PAD src0_sel:BYTE_1 src1_sel:DWORD
	v_sub_u16_e32 v19, v13, v19
	v_and_b32_e32 v19, 0xff, v19
	v_mul_u32_u24_e32 v63, 6, v19
	v_lshrrev_b16_e32 v64, 3, v14
	v_lshlrev_b32_e32 v76, 2, v63
	v_mul_u32_u24_e32 v75, 0x2493, v64
	global_load_dwordx4 v[63:66], v76, s[12:13] offset:208
	v_mul_lo_u16_sdwa v16, v75, v16 dst_sel:DWORD dst_unused:UNUSED_PAD src0_sel:WORD_1 src1_sel:DWORD
	v_sub_u16_e32 v16, v14, v16
	s_movk_i32 s3, 0x2b26
	s_movk_i32 s2, 0x3b00
	s_mov_b32 s6, 0xbcab
	s_movk_i32 s7, 0x39e0
	s_mov_b32 s9, 0xb9e0
	;; [unrolled: 2-line block ×3, first 2 shown]
	s_movk_i32 s8, 0x370e
	v_lshl_add_u32 v2, v2, 1, 0
	s_waitcnt vmcnt(4) lgkmcnt(14)
	v_mul_f16_sdwa v104, v67, v55 dst_sel:DWORD dst_unused:UNUSED_PAD src0_sel:DWORD src1_sel:WORD_1
	v_mul_f16_sdwa v105, v50, v55 dst_sel:DWORD dst_unused:UNUSED_PAD src0_sel:DWORD src1_sel:WORD_1
	s_waitcnt lgkmcnt(10)
	v_mul_f16_sdwa v106, v69, v56 dst_sel:DWORD dst_unused:UNUSED_PAD src0_sel:DWORD src1_sel:WORD_1
	v_mul_f16_sdwa v109, v49, v57 dst_sel:DWORD dst_unused:UNUSED_PAD src0_sel:DWORD src1_sel:WORD_1
	v_fma_f16 v50, v50, v55, -v104
	v_fma_f16 v104, v67, v55, v105
	v_mul_u32_u24_e32 v67, 6, v16
	v_mul_f16_sdwa v107, v54, v56 dst_sel:DWORD dst_unused:UNUSED_PAD src0_sel:DWORD src1_sel:WORD_1
	v_mul_f16_sdwa v111, v53, v58 dst_sel:DWORD dst_unused:UNUSED_PAD src0_sel:DWORD src1_sel:WORD_1
	v_fma_f16 v54, v54, v56, -v106
	v_fma_f16 v106, v68, v57, v109
	v_lshlrev_b32_e32 v109, 2, v67
	v_mul_f16_sdwa v108, v68, v57 dst_sel:DWORD dst_unused:UNUSED_PAD src0_sel:DWORD src1_sel:WORD_1
	s_waitcnt lgkmcnt(8)
	v_mul_f16_sdwa v110, v70, v58 dst_sel:DWORD dst_unused:UNUSED_PAD src0_sel:DWORD src1_sel:WORD_1
	v_fma_f16 v105, v69, v56, v107
	v_fma_f16 v107, v70, v58, v111
	global_load_dwordx4 v[67:70], v109, s[12:13] offset:208
	s_waitcnt vmcnt(4) lgkmcnt(4)
	v_mul_f16_sdwa v112, v99, v71 dst_sel:DWORD dst_unused:UNUSED_PAD src0_sel:DWORD src1_sel:WORD_1
	global_load_dwordx2 v[75:76], v76, s[12:13] offset:224
	v_fma_f16 v49, v49, v57, -v108
	v_fma_f16 v108, v51, v71, -v112
	v_mul_f16_sdwa v51, v51, v71 dst_sel:DWORD dst_unused:UNUSED_PAD src0_sel:DWORD src1_sel:WORD_1
	v_fma_f16 v51, v99, v71, v51
	v_mul_f16_sdwa v99, v97, v72 dst_sel:DWORD dst_unused:UNUSED_PAD src0_sel:DWORD src1_sel:WORD_1
	v_fma_f16 v99, v48, v72, -v99
	v_mul_f16_sdwa v48, v48, v72 dst_sel:DWORD dst_unused:UNUSED_PAD src0_sel:DWORD src1_sel:WORD_1
	v_fma_f16 v48, v97, v72, v48
	v_mul_f16_sdwa v97, v52, v55 dst_sel:DWORD dst_unused:UNUSED_PAD src0_sel:DWORD src1_sel:WORD_1
	;; [unrolled: 4-line block ×3, first 2 shown]
	v_fma_f16 v55, v47, v56, -v46
	v_mul_f16_sdwa v46, v47, v56 dst_sel:DWORD dst_unused:UNUSED_PAD src0_sel:DWORD src1_sel:WORD_1
	v_fma_f16 v56, v82, v56, v46
	global_load_dwordx2 v[46:47], v109, s[12:13] offset:224
	v_mul_f16_sdwa v82, v85, v57 dst_sel:DWORD dst_unused:UNUSED_PAD src0_sel:DWORD src1_sel:WORD_1
	v_fma_f16 v82, v45, v57, -v82
	v_mul_f16_sdwa v45, v45, v57 dst_sel:DWORD dst_unused:UNUSED_PAD src0_sel:DWORD src1_sel:WORD_1
	v_fma_f16 v45, v85, v57, v45
	v_mul_f16_sdwa v57, v88, v58 dst_sel:DWORD dst_unused:UNUSED_PAD src0_sel:DWORD src1_sel:WORD_1
	v_fma_f16 v57, v44, v58, -v57
	v_mul_f16_sdwa v44, v44, v58 dst_sel:DWORD dst_unused:UNUSED_PAD src0_sel:DWORD src1_sel:WORD_1
	v_fma_f16 v53, v53, v58, -v110
	v_fma_f16 v44, v88, v58, v44
	v_mul_f16_sdwa v58, v91, v71 dst_sel:DWORD dst_unused:UNUSED_PAD src0_sel:DWORD src1_sel:WORD_1
	v_fma_f16 v58, v43, v71, -v58
	v_mul_f16_sdwa v43, v43, v71 dst_sel:DWORD dst_unused:UNUSED_PAD src0_sel:DWORD src1_sel:WORD_1
	v_fma_f16 v43, v91, v71, v43
	v_mul_f16_sdwa v71, v35, v72 dst_sel:DWORD dst_unused:UNUSED_PAD src0_sel:DWORD src1_sel:WORD_1
	v_fma_f16 v71, v37, v72, -v71
	v_mul_f16_sdwa v37, v37, v72 dst_sel:DWORD dst_unused:UNUSED_PAD src0_sel:DWORD src1_sel:WORD_1
	v_fma_f16 v35, v35, v72, v37
	s_waitcnt vmcnt(5)
	v_mul_f16_sdwa v37, v77, v59 dst_sel:DWORD dst_unused:UNUSED_PAD src0_sel:DWORD src1_sel:WORD_1
	v_fma_f16 v37, v36, v59, -v37
	v_mul_f16_sdwa v36, v36, v59 dst_sel:DWORD dst_unused:UNUSED_PAD src0_sel:DWORD src1_sel:WORD_1
	v_fma_f16 v36, v77, v59, v36
	v_mul_f16_sdwa v59, v83, v60 dst_sel:DWORD dst_unused:UNUSED_PAD src0_sel:DWORD src1_sel:WORD_1
	v_fma_f16 v59, v41, v60, -v59
	v_mul_f16_sdwa v41, v41, v60 dst_sel:DWORD dst_unused:UNUSED_PAD src0_sel:DWORD src1_sel:WORD_1
	v_fma_f16 v41, v83, v60, v41
	;; [unrolled: 4-line block ×4, first 2 shown]
	s_waitcnt vmcnt(4)
	v_mul_f16_sdwa v62, v92, v73 dst_sel:DWORD dst_unused:UNUSED_PAD src0_sel:DWORD src1_sel:WORD_1
	v_fma_f16 v62, v38, v73, -v62
	v_mul_f16_sdwa v38, v38, v73 dst_sel:DWORD dst_unused:UNUSED_PAD src0_sel:DWORD src1_sel:WORD_1
	v_fma_f16 v38, v92, v73, v38
	s_waitcnt vmcnt(3)
	v_mul_f16_sdwa v73, v81, v63 dst_sel:DWORD dst_unused:UNUSED_PAD src0_sel:DWORD src1_sel:WORD_1
	v_fma_f16 v73, v33, v63, -v73
	v_mul_f16_sdwa v33, v33, v63 dst_sel:DWORD dst_unused:UNUSED_PAD src0_sel:DWORD src1_sel:WORD_1
	v_fma_f16 v33, v81, v63, v33
	v_mul_f16_sdwa v63, v84, v64 dst_sel:DWORD dst_unused:UNUSED_PAD src0_sel:DWORD src1_sel:WORD_1
	v_fma_f16 v63, v32, v64, -v63
	v_mul_f16_sdwa v32, v32, v64 dst_sel:DWORD dst_unused:UNUSED_PAD src0_sel:DWORD src1_sel:WORD_1
	v_fma_f16 v32, v84, v64, v32
	;; [unrolled: 4-line block ×4, first 2 shown]
	s_waitcnt lgkmcnt(2)
	v_mul_f16_sdwa v72, v101, v74 dst_sel:DWORD dst_unused:UNUSED_PAD src0_sel:DWORD src1_sel:WORD_1
	v_fma_f16 v72, v42, v74, -v72
	v_mul_f16_sdwa v42, v42, v74 dst_sel:DWORD dst_unused:UNUSED_PAD src0_sel:DWORD src1_sel:WORD_1
	v_fma_f16 v42, v101, v74, v42
	v_add_f16_e32 v77, v54, v108
	v_add_f16_e32 v81, v105, v51
	v_sub_f16_e32 v54, v54, v108
	v_sub_f16_e32 v51, v105, v51
	v_add_f16_e32 v83, v49, v53
	s_waitcnt vmcnt(1)
	v_mul_f16_sdwa v66, v93, v75 dst_sel:DWORD dst_unused:UNUSED_PAD src0_sel:DWORD src1_sel:WORD_1
	v_fma_f16 v66, v28, v75, -v66
	v_mul_f16_sdwa v28, v28, v75 dst_sel:DWORD dst_unused:UNUSED_PAD src0_sel:DWORD src1_sel:WORD_1
	v_fma_f16 v28, v93, v75, v28
	v_mul_f16_sdwa v75, v95, v67 dst_sel:DWORD dst_unused:UNUSED_PAD src0_sel:DWORD src1_sel:WORD_1
	v_fma_f16 v75, v29, v67, -v75
	v_mul_f16_sdwa v29, v29, v67 dst_sel:DWORD dst_unused:UNUSED_PAD src0_sel:DWORD src1_sel:WORD_1
	v_fma_f16 v29, v95, v67, v29
	;; [unrolled: 4-line block ×5, first 2 shown]
	s_waitcnt vmcnt(0)
	v_mul_f16_sdwa v70, v98, v46 dst_sel:DWORD dst_unused:UNUSED_PAD src0_sel:DWORD src1_sel:WORD_1
	v_fma_f16 v70, v23, v46, -v70
	v_mul_f16_sdwa v23, v23, v46 dst_sel:DWORD dst_unused:UNUSED_PAD src0_sel:DWORD src1_sel:WORD_1
	s_waitcnt lgkmcnt(1)
	v_mul_f16_sdwa v74, v102, v76 dst_sel:DWORD dst_unused:UNUSED_PAD src0_sel:DWORD src1_sel:WORD_1
	v_fma_f16 v23, v98, v46, v23
	s_waitcnt lgkmcnt(0)
	v_mul_f16_sdwa v46, v103, v47 dst_sel:DWORD dst_unused:UNUSED_PAD src0_sel:DWORD src1_sel:WORD_1
	v_fma_f16 v74, v34, v76, -v74
	v_mul_f16_sdwa v34, v34, v76 dst_sel:DWORD dst_unused:UNUSED_PAD src0_sel:DWORD src1_sel:WORD_1
	v_fma_f16 v46, v24, v47, -v46
	v_mul_f16_sdwa v24, v24, v47 dst_sel:DWORD dst_unused:UNUSED_PAD src0_sel:DWORD src1_sel:WORD_1
	v_fma_f16 v34, v102, v76, v34
	v_fma_f16 v24, v103, v47, v24
	v_add_f16_e32 v47, v50, v99
	v_add_f16_e32 v76, v104, v48
	v_sub_f16_e32 v50, v50, v99
	v_sub_f16_e32 v48, v104, v48
	v_add_f16_e32 v84, v106, v107
	v_sub_f16_e32 v49, v53, v49
	v_sub_f16_e32 v53, v107, v106
	v_add_f16_e32 v85, v77, v47
	v_add_f16_e32 v86, v81, v76
	v_sub_f16_e32 v87, v77, v47
	v_sub_f16_e32 v88, v81, v76
	;; [unrolled: 1-line block ×6, first 2 shown]
	v_add_f16_e32 v89, v49, v54
	v_add_f16_e32 v90, v53, v51
	v_sub_f16_e32 v91, v49, v54
	v_sub_f16_e32 v92, v53, v51
	;; [unrolled: 1-line block ×4, first 2 shown]
	v_add_f16_e32 v83, v83, v85
	v_add_f16_e32 v84, v84, v86
	v_sub_f16_e32 v49, v50, v49
	v_sub_f16_e32 v53, v48, v53
	v_add_f16_e32 v50, v89, v50
	v_add_f16_e32 v48, v90, v48
	;; [unrolled: 1-line block ×4, first 2 shown]
	v_mul_f16_e32 v47, 0x3a52, v47
	v_mul_f16_e32 v76, 0x3a52, v76
	;; [unrolled: 1-line block ×8, first 2 shown]
	v_fma_f16 v83, v83, s6, v22
	v_fma_f16 v84, v84, s6, v78
	;; [unrolled: 1-line block ×4, first 2 shown]
	v_fma_f16 v85, v87, s7, -v85
	v_fma_f16 v86, v88, s7, -v86
	;; [unrolled: 1-line block ×4, first 2 shown]
	v_fma_f16 v87, v49, s14, v89
	v_fma_f16 v88, v53, s14, v90
	v_fma_f16 v51, v51, s2, -v90
	v_fma_f16 v49, v49, s15, -v91
	;; [unrolled: 1-line block ×4, first 2 shown]
	v_add_f16_e32 v77, v77, v83
	v_add_f16_e32 v81, v81, v84
	;; [unrolled: 1-line block ×6, first 2 shown]
	v_fma_f16 v83, v50, s8, v87
	v_fma_f16 v84, v48, s8, v88
	;; [unrolled: 1-line block ×6, first 2 shown]
	v_add_f16_e32 v50, v84, v77
	v_sub_f16_e32 v87, v81, v83
	v_add_f16_e32 v53, v48, v47
	v_sub_f16_e32 v88, v76, v49
	v_sub_f16_e32 v47, v47, v48
	v_add_f16_e32 v76, v49, v76
	v_sub_f16_e32 v48, v77, v84
	v_add_f16_e32 v77, v83, v81
	v_add_f16_e32 v49, v97, v71
	v_add_f16_e32 v81, v52, v35
	v_sub_f16_e32 v35, v52, v35
	v_add_f16_e32 v52, v55, v58
	v_add_f16_e32 v83, v56, v43
	v_sub_f16_e32 v71, v97, v71
	v_sub_f16_e32 v55, v55, v58
	;; [unrolled: 1-line block ×3, first 2 shown]
	v_add_f16_e32 v56, v82, v57
	v_add_f16_e32 v58, v45, v44
	v_sub_f16_e32 v57, v57, v82
	v_sub_f16_e32 v44, v44, v45
	v_add_f16_e32 v45, v52, v49
	v_add_f16_e32 v82, v83, v81
	v_sub_f16_e32 v89, v85, v51
	v_add_f16_e32 v90, v54, v86
	v_add_f16_e32 v51, v51, v85
	v_sub_f16_e32 v54, v86, v54
	v_sub_f16_e32 v84, v52, v49
	;; [unrolled: 1-line block ×7, first 2 shown]
	v_add_f16_e32 v86, v57, v55
	v_add_f16_e32 v91, v44, v43
	v_sub_f16_e32 v92, v57, v55
	v_sub_f16_e32 v93, v44, v43
	;; [unrolled: 1-line block ×4, first 2 shown]
	v_add_f16_e32 v45, v56, v45
	v_add_f16_e32 v56, v58, v82
	v_sub_f16_e32 v57, v71, v57
	v_sub_f16_e32 v44, v35, v44
	v_add_f16_e32 v58, v86, v71
	v_add_f16_e32 v35, v91, v35
	;; [unrolled: 1-line block ×4, first 2 shown]
	v_mul_f16_e32 v49, 0x3a52, v49
	v_mul_f16_e32 v79, 0x3a52, v81
	;; [unrolled: 1-line block ×8, first 2 shown]
	v_fma_f16 v45, v45, s6, v21
	v_fma_f16 v56, v56, s6, v71
	;; [unrolled: 1-line block ×4, first 2 shown]
	v_fma_f16 v81, v84, s7, -v81
	v_fma_f16 v82, v85, s7, -v82
	;; [unrolled: 1-line block ×4, first 2 shown]
	v_fma_f16 v84, v57, s14, v86
	v_fma_f16 v85, v44, s14, v91
	v_fma_f16 v43, v43, s2, -v91
	v_fma_f16 v57, v57, s15, -v92
	;; [unrolled: 1-line block ×3, first 2 shown]
	v_add_f16_e32 v52, v52, v45
	v_add_f16_e32 v81, v81, v45
	;; [unrolled: 1-line block ×4, first 2 shown]
	v_fma_f16 v79, v35, s8, v85
	v_fma_f16 v43, v35, s8, v43
	;; [unrolled: 1-line block ×4, first 2 shown]
	v_fma_f16 v55, v55, s2, -v86
	v_add_f16_e32 v83, v83, v56
	v_add_f16_e32 v82, v82, v56
	v_fma_f16 v56, v58, s8, v84
	v_add_f16_e32 v44, v79, v52
	v_add_f16_e32 v84, v35, v45
	v_sub_f16_e32 v85, v49, v57
	v_sub_f16_e32 v35, v45, v35
	v_add_f16_e32 v57, v57, v49
	v_sub_f16_e32 v45, v52, v79
	v_add_f16_e32 v49, v37, v72
	v_add_f16_e32 v52, v36, v42
	v_sub_f16_e32 v37, v37, v72
	v_sub_f16_e32 v36, v36, v42
	v_add_f16_e32 v42, v59, v62
	v_add_f16_e32 v72, v41, v38
	v_fma_f16 v55, v58, s8, v55
	v_sub_f16_e32 v59, v59, v62
	v_sub_f16_e32 v38, v41, v38
	v_add_f16_e32 v41, v60, v61
	v_add_f16_e32 v62, v40, v39
	v_sub_f16_e32 v60, v61, v60
	v_sub_f16_e32 v39, v39, v40
	v_add_f16_e32 v40, v42, v49
	v_add_f16_e32 v61, v72, v52
	;; [unrolled: 4-line block ×3, first 2 shown]
	v_sub_f16_e32 v55, v82, v55
	v_add_f16_e32 v56, v56, v83
	v_sub_f16_e32 v79, v42, v49
	v_sub_f16_e32 v81, v72, v52
	;; [unrolled: 1-line block ×6, first 2 shown]
	v_add_f16_e32 v82, v60, v59
	v_add_f16_e32 v83, v39, v38
	v_sub_f16_e32 v92, v60, v59
	v_sub_f16_e32 v93, v39, v38
	;; [unrolled: 1-line block ×4, first 2 shown]
	v_add_f16_e32 v40, v41, v40
	v_add_f16_e32 v41, v62, v61
	v_sub_f16_e32 v60, v37, v60
	v_sub_f16_e32 v39, v36, v39
	v_add_f16_e32 v37, v82, v37
	v_add_f16_e32 v36, v83, v36
	;; [unrolled: 1-line block ×4, first 2 shown]
	v_mul_f16_e32 v49, 0x3a52, v49
	v_mul_f16_e32 v52, 0x3a52, v52
	;; [unrolled: 1-line block ×8, first 2 shown]
	v_fma_f16 v40, v40, s6, v10
	v_fma_f16 v41, v41, s6, v61
	;; [unrolled: 1-line block ×4, first 2 shown]
	v_fma_f16 v62, v79, s7, -v62
	v_fma_f16 v80, v81, s7, -v80
	;; [unrolled: 1-line block ×4, first 2 shown]
	v_fma_f16 v79, v60, s14, v82
	v_fma_f16 v81, v39, s14, v83
	v_fma_f16 v59, v59, s2, -v82
	v_fma_f16 v38, v38, s2, -v83
	v_fma_f16 v60, v60, s15, -v92
	v_fma_f16 v39, v39, s15, -v93
	v_add_f16_e32 v42, v42, v40
	v_add_f16_e32 v72, v72, v41
	v_add_f16_e32 v62, v62, v40
	v_add_f16_e32 v80, v80, v41
	v_add_f16_e32 v40, v49, v40
	v_add_f16_e32 v41, v52, v41
	v_fma_f16 v49, v37, s8, v79
	v_fma_f16 v52, v36, s8, v81
	;; [unrolled: 1-line block ×6, first 2 shown]
	v_sub_f16_e32 v60, v72, v49
	v_add_f16_e32 v79, v36, v40
	v_sub_f16_e32 v81, v41, v37
	v_sub_f16_e32 v82, v62, v38
	v_add_f16_e32 v38, v38, v62
	v_sub_f16_e32 v36, v40, v36
	v_add_f16_e32 v62, v37, v41
	v_add_f16_e32 v72, v49, v72
	;; [unrolled: 1-line block ×4, first 2 shown]
	v_sub_f16_e32 v33, v33, v34
	v_add_f16_e32 v34, v63, v66
	v_add_f16_e32 v49, v32, v28
	;; [unrolled: 1-line block ×3, first 2 shown]
	v_sub_f16_e32 v37, v42, v52
	v_sub_f16_e32 v42, v73, v74
	;; [unrolled: 1-line block ×4, first 2 shown]
	v_add_f16_e32 v32, v64, v65
	v_add_f16_e32 v63, v31, v30
	v_sub_f16_e32 v64, v65, v64
	v_sub_f16_e32 v30, v30, v31
	v_add_f16_e32 v31, v34, v40
	v_add_f16_e32 v65, v49, v41
	;; [unrolled: 1-line block ×3, first 2 shown]
	v_sub_f16_e32 v59, v80, v59
	v_sub_f16_e32 v66, v34, v40
	v_sub_f16_e32 v73, v49, v41
	v_sub_f16_e32 v40, v40, v32
	v_sub_f16_e32 v41, v41, v63
	v_sub_f16_e32 v34, v32, v34
	v_sub_f16_e32 v49, v63, v49
	v_add_f16_e32 v74, v64, v52
	v_add_f16_e32 v80, v30, v28
	v_sub_f16_e32 v92, v64, v52
	v_sub_f16_e32 v93, v30, v28
	v_sub_f16_e32 v52, v52, v42
	v_sub_f16_e32 v28, v28, v33
	v_add_f16_e32 v31, v32, v31
	v_add_f16_e32 v32, v63, v65
	v_sub_f16_e32 v64, v42, v64
	v_sub_f16_e32 v30, v33, v30
	v_add_f16_e32 v42, v74, v42
	v_add_f16_e32 v33, v80, v33
	;; [unrolled: 1-line block ×4, first 2 shown]
	v_mul_f16_e32 v20, 0x3a52, v40
	v_mul_f16_e32 v40, 0x3a52, v41
	;; [unrolled: 1-line block ×8, first 2 shown]
	v_fma_f16 v31, v31, s6, v9
	v_fma_f16 v32, v32, s6, v63
	;; [unrolled: 1-line block ×4, first 2 shown]
	v_fma_f16 v41, v66, s7, -v41
	v_fma_f16 v65, v73, s7, -v65
	;; [unrolled: 1-line block ×4, first 2 shown]
	v_fma_f16 v66, v64, s14, v74
	v_fma_f16 v73, v30, s14, v80
	v_fma_f16 v52, v52, s2, -v74
	v_fma_f16 v64, v64, s15, -v92
	;; [unrolled: 1-line block ×4, first 2 shown]
	v_add_f16_e32 v34, v34, v31
	v_add_f16_e32 v49, v49, v32
	;; [unrolled: 1-line block ×6, first 2 shown]
	v_fma_f16 v32, v42, s8, v66
	v_fma_f16 v40, v33, s8, v73
	;; [unrolled: 1-line block ×6, first 2 shown]
	v_add_f16_e32 v33, v40, v34
	v_sub_f16_e32 v64, v49, v32
	v_add_f16_e32 v66, v30, v20
	v_sub_f16_e32 v73, v31, v42
	v_sub_f16_e32 v20, v20, v30
	v_add_f16_e32 v92, v42, v31
	v_sub_f16_e32 v30, v34, v40
	v_add_f16_e32 v93, v32, v49
	v_add_f16_e32 v31, v75, v46
	;; [unrolled: 1-line block ×3, first 2 shown]
	v_sub_f16_e32 v24, v29, v24
	v_add_f16_e32 v29, v67, v70
	v_add_f16_e32 v40, v25, v23
	v_sub_f16_e32 v23, v25, v23
	v_add_f16_e32 v25, v68, v69
	v_add_f16_e32 v42, v26, v27
	;; [unrolled: 3-line block ×4, first 2 shown]
	v_sub_f16_e32 v65, v65, v52
	v_sub_f16_e32 v34, v75, v46
	;; [unrolled: 1-line block ×10, first 2 shown]
	v_add_f16_e32 v69, v26, v23
	v_sub_f16_e32 v75, v26, v23
	v_sub_f16_e32 v23, v23, v24
	v_add_f16_e32 v25, v25, v27
	v_add_f16_e32 v27, v42, v49
	;; [unrolled: 1-line block ×3, first 2 shown]
	v_sub_f16_e32 v70, v46, v41
	v_sub_f16_e32 v26, v24, v26
	;; [unrolled: 1-line block ×3, first 2 shown]
	v_add_f16_e32 v24, v69, v24
	v_add_f16_e32 v3, v3, v25
	;; [unrolled: 1-line block ×3, first 2 shown]
	v_mul_f16_e32 v31, 0x3a52, v31
	v_mul_f16_e32 v32, 0x3a52, v32
	;; [unrolled: 1-line block ×6, first 2 shown]
	v_sub_f16_e32 v46, v34, v46
	v_add_f16_e32 v34, v68, v34
	v_mul_f16_e32 v68, 0xb846, v70
	v_mul_f16_e32 v70, 0x3b00, v41
	v_fma_f16 v25, v25, s6, v3
	v_fma_f16 v27, v27, s6, v8
	;; [unrolled: 1-line block ×4, first 2 shown]
	v_fma_f16 v42, v52, s7, -v42
	v_fma_f16 v49, v67, s7, -v49
	;; [unrolled: 1-line block ×4, first 2 shown]
	v_fma_f16 v67, v26, s14, v69
	v_fma_f16 v23, v23, s2, -v69
	v_fma_f16 v26, v26, s15, -v75
	v_fma_f16 v52, v46, s14, v68
	v_fma_f16 v41, v41, s2, -v68
	v_fma_f16 v46, v46, s15, -v70
	v_add_f16_e32 v29, v29, v25
	v_add_f16_e32 v40, v40, v27
	;; [unrolled: 1-line block ×6, first 2 shown]
	v_fma_f16 v32, v24, s8, v67
	v_fma_f16 v23, v24, s8, v23
	;; [unrolled: 1-line block ×3, first 2 shown]
	s_waitcnt lgkmcnt(0)
	; wave barrier
	ds_write_b16 v18, v22
	ds_write_b16 v18, v50 offset:112
	ds_write_b16 v18, v53 offset:224
	;; [unrolled: 1-line block ×7, first 2 shown]
	ds_write_b16 v1, v44
	ds_write_b16 v18, v84 offset:1008
	ds_write_b16 v18, v86 offset:1120
	;; [unrolled: 1-line block ×12, first 2 shown]
	v_lshl_add_u32 v10, v19, 1, 0
	v_fma_f16 v31, v34, s8, v52
	v_fma_f16 v41, v34, s8, v41
	;; [unrolled: 1-line block ×3, first 2 shown]
	v_add_f16_e32 v26, v32, v29
	v_add_f16_e32 v46, v24, v25
	v_sub_f16_e32 v52, v42, v23
	v_add_f16_e32 v23, v23, v42
	v_sub_f16_e32 v24, v25, v24
	v_sub_f16_e32 v25, v29, v32
	ds_write_b16 v10, v9 offset:2352
	ds_write_b16 v10, v33 offset:2464
	;; [unrolled: 1-line block ×7, first 2 shown]
	v_lshl_add_u32 v9, v16, 1, 0
	v_sub_f16_e32 v67, v40, v31
	v_sub_f16_e32 v68, v27, v34
	v_add_f16_e32 v69, v41, v49
	v_sub_f16_e32 v70, v49, v41
	v_add_f16_e32 v75, v34, v27
	v_add_f16_e32 v94, v31, v40
	ds_write_b16 v9, v3 offset:3136
	ds_write_b16 v9, v26 offset:3248
	;; [unrolled: 1-line block ×7, first 2 shown]
	s_waitcnt lgkmcnt(0)
	; wave barrier
	s_waitcnt lgkmcnt(0)
	ds_read_u16 v26, v18 offset:1680
	ds_read_u16 v25, v18 offset:2464
	;; [unrolled: 1-line block ×6, first 2 shown]
	ds_read_u16 v19, v18
	ds_read_u16 v21, v18 offset:112
	ds_read_u16 v29, v18 offset:224
	;; [unrolled: 1-line block ×28, first 2 shown]
	s_waitcnt lgkmcnt(0)
	; wave barrier
	s_waitcnt lgkmcnt(0)
	ds_write_b16 v18, v78
	ds_write_b16 v18, v87 offset:112
	ds_write_b16 v18, v88 offset:224
	;; [unrolled: 1-line block ×7, first 2 shown]
	ds_write_b16 v1, v58
	ds_write_b16 v18, v85 offset:1008
	ds_write_b16 v18, v91 offset:1120
	;; [unrolled: 1-line block ×26, first 2 shown]
	s_waitcnt lgkmcnt(0)
	; wave barrier
	s_waitcnt lgkmcnt(0)
	s_and_saveexec_b64 s[2:3], s[0:1]
	s_cbranch_execz .LBB0_29
; %bb.28:
	v_lshlrev_b32_e32 v8, 2, v0
	v_mov_b32_e32 v9, 0
	v_lshlrev_b64 v[0:1], 2, v[8:9]
	v_mov_b32_e32 v8, s13
	v_add_co_u32_e32 v0, vcc, s12, v0
	v_addc_co_u32_e32 v1, vcc, v8, v1, vcc
	global_load_dwordx4 v[0:3], v[0:1], off offset:1552
	v_lshlrev_b32_e32 v15, 2, v15
	v_mov_b32_e32 v16, v9
	v_lshlrev_b64 v[15:16], 2, v[15:16]
	ds_read_u16 v62, v18 offset:2576
	ds_read_u16 v64, v18 offset:2464
	;; [unrolled: 1-line block ×18, first 2 shown]
	v_add_co_u32_e32 v15, vcc, s12, v15
	v_addc_co_u32_e32 v16, vcc, v8, v16, vcc
	global_load_dwordx4 v[56:59], v[15:16], off offset:1552
	ds_read_u16 v16, v18 offset:1456
	ds_read_u16 v75, v18 offset:1344
	v_mul_lo_u32 v54, s5, v6
	v_mul_lo_u32 v55, s4, v7
	v_mad_u64_u32 v[6:7], s[0:1], s4, v6, 0
	s_movk_i32 s0, 0x3b9c
	s_movk_i32 s1, 0x38b4
	v_add3_u32 v7, v7, v55, v54
	s_mov_b32 s3, 0xbb9c
	s_mov_b32 s4, 0xb8b4
	s_movk_i32 s2, 0x34f2
	v_lshlrev_b32_e32 v14, 2, v14
	v_lshlrev_b32_e32 v13, 2, v13
	;; [unrolled: 1-line block ×5, first 2 shown]
	v_lshlrev_b64 v[6:7], 2, v[6:7]
	v_lshlrev_b64 v[4:5], 2, v[4:5]
	s_waitcnt vmcnt(1)
	v_lshrrev_b32_e32 v15, 16, v0
	v_lshrrev_b32_e32 v54, 16, v1
	v_lshrrev_b32_e32 v55, 16, v2
	v_lshrrev_b32_e32 v71, 16, v3
	s_waitcnt lgkmcnt(1)
	v_mul_f16_e32 v80, v0, v16
	v_mul_f16_e32 v81, v1, v60
	;; [unrolled: 1-line block ×4, first 2 shown]
	v_fma_f16 v80, v40, v15, v80
	v_fma_f16 v81, v41, v54, v81
	;; [unrolled: 1-line block ×4, first 2 shown]
	v_mul_f16_e32 v15, v15, v16
	v_mul_f16_e32 v16, v71, v68
	;; [unrolled: 1-line block ×4, first 2 shown]
	v_sub_f16_e32 v60, v80, v81
	v_sub_f16_e32 v68, v82, v83
	v_fma_f16 v15, v40, v0, -v15
	v_fma_f16 v69, v44, v3, -v16
	v_add_f16_e32 v0, v81, v83
	v_fma_f16 v54, v41, v1, -v54
	v_fma_f16 v55, v42, v2, -v55
	v_add_f16_e32 v41, v60, v68
	v_sub_f16_e32 v68, v15, v69
	v_fma_f16 v71, v0, -0.5, v70
	v_sub_f16_e32 v60, v54, v55
	v_sub_f16_e32 v0, v15, v54
	;; [unrolled: 1-line block ×3, first 2 shown]
	v_add_f16_e32 v2, v54, v55
	v_fma_f16 v3, v68, s0, v71
	v_add_f16_e32 v84, v0, v1
	v_fma_f16 v85, v2, -0.5, v47
	v_fma_f16 v0, v60, s1, v3
	v_sub_f16_e32 v2, v81, v80
	v_sub_f16_e32 v3, v83, v82
	v_add_f16_e32 v16, v2, v3
	v_add_f16_e32 v2, v80, v82
	v_fma_f16 v40, v2, -0.5, v70
	v_sub_f16_e32 v3, v54, v15
	v_sub_f16_e32 v86, v55, v69
	v_fma_f16 v2, v60, s3, v40
	v_add_f16_e32 v86, v3, v86
	v_add_f16_e32 v3, v15, v69
	v_fma_f16 v40, v60, s0, v40
	v_sub_f16_e32 v44, v81, v83
	v_fma_f16 v2, v68, s1, v2
	v_fma_f16 v87, v3, -0.5, v47
	v_fma_f16 v40, v68, s4, v40
	v_sub_f16_e32 v42, v80, v82
	v_fma_f16 v2, v16, s2, v2
	v_fma_f16 v3, v44, s0, v87
	;; [unrolled: 1-line block ×8, first 2 shown]
	v_add_f16_e32 v15, v47, v15
	v_fma_f16 v1, v44, s4, v1
	v_fma_f16 v42, v44, s1, v42
	v_add_f16_e32 v44, v80, v70
	v_add_f16_e32 v15, v15, v54
	;; [unrolled: 1-line block ×3, first 2 shown]
	ds_read_u16 v81, v18 offset:1232
	v_add_f16_e32 v15, v15, v55
	v_add_f16_e32 v44, v83, v44
	;; [unrolled: 1-line block ×3, first 2 shown]
	s_waitcnt vmcnt(0)
	v_lshrrev_b32_e32 v54, 16, v56
	s_waitcnt lgkmcnt(1)
	v_mul_f16_e32 v15, v56, v75
	v_add_f16_e32 v44, v82, v44
	v_fma_f16 v82, v50, v54, v15
	v_mov_b32_e32 v15, v9
	v_lshlrev_b64 v[14:15], 2, v[14:15]
	v_fma_f16 v68, v68, s3, v71
	v_fma_f16 v60, v60, s4, v68
	v_add_co_u32_e32 v14, vcc, s12, v14
	v_fma_f16 v0, v41, s2, v0
	v_fma_f16 v1, v84, s2, v1
	;; [unrolled: 1-line block ×4, first 2 shown]
	v_lshrrev_b32_e32 v55, 16, v57
	v_lshrrev_b32_e32 v60, 16, v58
	v_lshrrev_b32_e32 v80, 16, v59
	v_mul_f16_e32 v84, v57, v61
	v_addc_co_u32_e32 v15, vcc, v8, v15, vcc
	v_mul_f16_e32 v85, v59, v72
	v_mul_f16_e32 v87, v58, v73
	global_load_dwordx4 v[68:71], v[14:15], off offset:1552
	v_fma_f16 v14, v51, v55, v84
	v_fma_f16 v85, v53, v80, v85
	;; [unrolled: 1-line block ×3, first 2 shown]
	v_sub_f16_e32 v15, v82, v14
	v_sub_f16_e32 v88, v85, v87
	v_add_f16_e32 v88, v15, v88
	v_mul_f16_e32 v15, v55, v61
	v_fma_f16 v61, v51, v57, -v15
	v_mul_f16_e32 v15, v60, v73
	v_fma_f16 v58, v52, v58, -v15
	;; [unrolled: 2-line block ×4, first 2 shown]
	v_sub_f16_e32 v50, v60, v61
	v_sub_f16_e32 v51, v59, v58
	v_add_f16_e32 v72, v50, v51
	v_sub_f16_e32 v51, v14, v82
	v_sub_f16_e32 v52, v87, v85
	v_add_f16_e32 v53, v51, v52
	v_add_f16_e32 v51, v82, v85
	v_sub_f16_e32 v55, v61, v58
	v_add_f16_e32 v15, v14, v87
	v_fma_f16 v54, v51, -0.5, v74
	v_sub_f16_e32 v56, v60, v59
	v_fma_f16 v57, v15, -0.5, v74
	v_fma_f16 v51, v55, s3, v54
	v_fma_f16 v54, v55, s0, v54
	;; [unrolled: 1-line block ×6, first 2 shown]
	v_add_f16_e32 v57, v82, v74
	v_sub_f16_e32 v89, v14, v87
	v_add_f16_e32 v14, v14, v57
	v_add_f16_e32 v14, v87, v14
	;; [unrolled: 1-line block ×4, first 2 shown]
	v_sub_f16_e32 v52, v61, v60
	v_sub_f16_e32 v90, v58, v59
	v_add_f16_e32 v14, v14, v61
	v_add_f16_e32 v50, v61, v58
	;; [unrolled: 1-line block ×5, first 2 shown]
	v_fma_f16 v73, v50, -0.5, v49
	v_fma_f16 v91, v52, -0.5, v49
	v_add_f16_e32 v49, v59, v14
	v_mov_b32_e32 v14, v9
	v_lshlrev_b64 v[13:14], 2, v[13:14]
	v_sub_f16_e32 v75, v82, v85
	ds_read_u16 v82, v18 offset:1120
	v_fma_f16 v15, v55, s1, v15
	v_fma_f16 v50, v75, s3, v73
	;; [unrolled: 1-line block ×4, first 2 shown]
	v_add_co_u32_e32 v13, vcc, s12, v13
	v_fma_f16 v50, v89, s4, v50
	v_fma_f16 v51, v53, s2, v51
	;; [unrolled: 1-line block ×6, first 2 shown]
	v_addc_co_u32_e32 v14, vcc, v8, v14, vcc
	v_fma_f16 v50, v72, s2, v50
	v_fma_f16 v52, v75, s4, v52
	v_fma_f16 v54, v75, s1, v54
	v_fma_f16 v56, v72, s2, v56
	global_load_dwordx4 v[72:75], v[13:14], off offset:1552
	ds_read_u16 v83, v18 offset:2016
	ds_read_u16 v89, v18 offset:2688
	v_fma_f16 v3, v86, s2, v3
	v_fma_f16 v40, v86, s2, v40
	ds_read_u16 v84, v18 offset:3584
	ds_read_u16 v86, v18 offset:2800
	;; [unrolled: 1-line block ×4, first 2 shown]
	s_waitcnt vmcnt(1)
	v_lshrrev_b32_e32 v13, 16, v68
	s_waitcnt lgkmcnt(7)
	v_mul_f16_e32 v60, v68, v81
	v_lshrrev_b32_e32 v14, 16, v69
	v_fma_f16 v61, v43, v13, v60
	s_waitcnt lgkmcnt(5)
	v_mul_f16_e32 v60, v69, v83
	v_lshrrev_b32_e32 v58, 16, v70
	v_fma_f16 v87, v45, v14, v60
	v_mul_f16_e32 v14, v14, v83
	v_lshrrev_b32_e32 v59, 16, v71
	v_fma_f16 v69, v45, v69, -v14
	s_waitcnt lgkmcnt(2)
	v_mul_f16_e32 v14, v58, v86
	v_fma_f16 v52, v90, s2, v52
	v_fma_f16 v54, v90, s2, v54
	v_mul_f16_e32 v90, v70, v86
	v_fma_f16 v70, v46, v70, -v14
	v_mul_f16_e32 v13, v13, v81
	v_mul_f16_e32 v14, v59, v84
	v_fma_f16 v15, v88, s2, v15
	v_fma_f16 v55, v88, s2, v55
	v_mul_f16_e32 v88, v71, v84
	v_fma_f16 v13, v43, v68, -v13
	v_fma_f16 v68, v48, v71, -v14
	v_fma_f16 v88, v48, v59, v88
	v_fma_f16 v90, v46, v58, v90
	v_sub_f16_e32 v43, v13, v69
	v_sub_f16_e32 v45, v68, v70
	v_add_f16_e32 v84, v43, v45
	v_sub_f16_e32 v45, v87, v61
	v_sub_f16_e32 v46, v90, v88
	v_add_f16_e32 v48, v45, v46
	v_sub_f16_e32 v46, v69, v13
	v_sub_f16_e32 v93, v70, v68
	;; [unrolled: 1-line block ×5, first 2 shown]
	v_add_f16_e32 v93, v46, v93
	v_add_f16_e32 v46, v13, v68
	;; [unrolled: 1-line block ×4, first 2 shown]
	ds_read_u16 v81, v18 offset:336
	v_sub_f16_e32 v91, v61, v88
	v_add_f16_e32 v45, v61, v88
	s_waitcnt lgkmcnt(2)
	v_add_f16_e32 v61, v61, v80
	v_add_f16_e32 v13, v13, v69
	;; [unrolled: 1-line block ×6, first 2 shown]
	v_fma_f16 v71, v14, -0.5, v80
	v_fma_f16 v86, v43, -0.5, v39
	;; [unrolled: 1-line block ×4, first 2 shown]
	v_add_f16_e32 v61, v90, v61
	v_add_f16_e32 v39, v68, v13
	;; [unrolled: 1-line block ×3, first 2 shown]
	v_sub_f16_e32 v83, v69, v70
	v_fma_f16 v45, v83, s3, v58
	v_fma_f16 v58, v83, s0, v58
	;; [unrolled: 1-line block ×10, first 2 shown]
	v_sub_f16_e32 v92, v87, v90
	v_fma_f16 v59, v60, s2, v59
	v_fma_f16 v60, v91, s0, v86
	;; [unrolled: 1-line block ×4, first 2 shown]
	s_waitcnt vmcnt(0)
	v_lshrrev_b32_e32 v80, 16, v72
	v_mul_f16_e32 v13, v72, v82
	v_fma_f16 v88, v36, v80, v13
	v_mov_b32_e32 v13, v9
	v_lshlrev_b64 v[12:13], 2, v[12:13]
	v_fma_f16 v46, v92, s0, v94
	v_add_co_u32_e32 v12, vcc, s12, v12
	v_addc_co_u32_e32 v13, vcc, v8, v13, vcc
	global_load_dwordx4 v[68:71], v[12:13], off offset:1552
	v_fma_f16 v48, v48, s2, v58
	v_fma_f16 v58, v92, s3, v94
	;; [unrolled: 1-line block ×7, first 2 shown]
	v_lshrrev_b32_e32 v83, 16, v73
	v_lshrrev_b32_e32 v84, 16, v74
	;; [unrolled: 1-line block ×3, first 2 shown]
	ds_read_u16 v87, v18 offset:1008
	ds_read_u16 v90, v18 offset:1792
	s_waitcnt lgkmcnt(3)
	v_mul_f16_e32 v12, v73, v85
	v_mul_f16_e32 v91, v75, v76
	;; [unrolled: 1-line block ×3, first 2 shown]
	v_fma_f16 v12, v37, v83, v12
	v_fma_f16 v91, v35, v86, v91
	;; [unrolled: 1-line block ×5, first 2 shown]
	v_sub_f16_e32 v13, v88, v12
	v_sub_f16_e32 v93, v91, v92
	v_add_f16_e32 v93, v13, v93
	v_mul_f16_e32 v13, v83, v85
	v_fma_f16 v37, v37, v73, -v13
	v_mul_f16_e32 v13, v84, v89
	v_fma_f16 v38, v38, v74, -v13
	;; [unrolled: 2-line block ×3, first 2 shown]
	v_mul_f16_e32 v13, v86, v76
	v_sub_f16_e32 v85, v12, v88
	v_sub_f16_e32 v86, v92, v91
	v_add_f16_e32 v85, v85, v86
	v_add_f16_e32 v86, v88, v91
	v_sub_f16_e32 v73, v37, v38
	v_fma_f16 v35, v35, v75, -v13
	v_add_f16_e32 v13, v12, v92
	ds_read_u16 v74, v18 offset:224
	s_waitcnt lgkmcnt(3)
	v_fma_f16 v86, v86, -0.5, v81
	v_sub_f16_e32 v72, v36, v35
	v_fma_f16 v75, v13, -0.5, v81
	v_fma_f16 v89, v73, s3, v86
	v_fma_f16 v86, v73, s0, v86
	;; [unrolled: 1-line block ×6, first 2 shown]
	v_add_f16_e32 v75, v88, v81
	v_sub_f16_e32 v84, v12, v92
	v_add_f16_e32 v12, v12, v75
	v_add_f16_e32 v12, v92, v12
	;; [unrolled: 1-line block ×5, first 2 shown]
	v_sub_f16_e32 v76, v36, v37
	v_sub_f16_e32 v80, v35, v38
	v_add_f16_e32 v12, v12, v38
	v_add_f16_e32 v76, v76, v80
	;; [unrolled: 1-line block ×3, first 2 shown]
	v_sub_f16_e32 v95, v38, v35
	v_add_f16_e32 v38, v35, v12
	v_mov_b32_e32 v12, v9
	v_sub_f16_e32 v94, v37, v36
	v_lshlrev_b64 v[11:12], 2, v[11:12]
	v_fma_f16 v80, v80, -0.5, v34
	v_sub_f16_e32 v82, v88, v91
	v_add_f16_e32 v94, v94, v95
	v_add_f16_e32 v95, v36, v35
	v_fma_f16 v13, v73, s1, v13
	v_fma_f16 v83, v82, s3, v80
	v_fma_f16 v95, v95, -0.5, v34
	v_fma_f16 v72, v73, s4, v72
	v_fma_f16 v73, v82, s0, v80
	v_add_co_u32_e32 v11, vcc, s12, v11
	v_fma_f16 v83, v84, s4, v83
	v_fma_f16 v89, v85, s2, v89
	;; [unrolled: 1-line block ×6, first 2 shown]
	v_addc_co_u32_e32 v12, vcc, v8, v12, vcc
	v_fma_f16 v83, v76, s2, v83
	v_fma_f16 v96, v82, s4, v96
	;; [unrolled: 1-line block ×4, first 2 shown]
	global_load_dwordx4 v[34:37], v[11:12], off offset:1552
	s_waitcnt vmcnt(1)
	v_lshrrev_b32_e32 v11, 16, v68
	v_lshrrev_b32_e32 v12, 16, v69
	;; [unrolled: 1-line block ×4, first 2 shown]
	ds_read_u16 v81, v18 offset:896
	s_waitcnt lgkmcnt(3)
	v_mul_f16_e32 v82, v68, v87
	s_waitcnt lgkmcnt(2)
	v_mul_f16_e32 v84, v69, v90
	v_mul_f16_e32 v91, v71, v77
	v_mul_f16_e32 v92, v70, v62
	v_fma_f16 v82, v32, v11, v82
	v_fma_f16 v84, v33, v12, v84
	;; [unrolled: 1-line block ×4, first 2 shown]
	v_mul_f16_e32 v12, v12, v90
	v_fma_f16 v12, v33, v69, -v12
	v_mul_f16_e32 v33, v76, v62
	v_mul_f16_e32 v11, v11, v87
	v_sub_f16_e32 v87, v84, v82
	v_sub_f16_e32 v90, v92, v91
	v_fma_f16 v33, v31, v70, -v33
	v_fma_f16 v11, v32, v68, -v11
	ds_read_u16 v68, v18 offset:112
	v_mul_f16_e32 v32, v80, v77
	v_add_f16_e32 v87, v87, v90
	v_add_f16_e32 v90, v82, v91
	v_fma_f16 v13, v93, s2, v13
	v_fma_f16 v72, v93, s2, v72
	v_sub_f16_e32 v88, v82, v84
	v_sub_f16_e32 v93, v91, v92
	;; [unrolled: 1-line block ×3, first 2 shown]
	v_fma_f16 v62, v30, v71, -v32
	v_add_f16_e32 v32, v84, v92
	s_waitcnt lgkmcnt(2)
	v_fma_f16 v90, v90, -0.5, v74
	v_add_f16_e32 v88, v88, v93
	v_sub_f16_e32 v30, v11, v62
	v_fma_f16 v32, v32, -0.5, v74
	v_sub_f16_e32 v70, v11, v12
	v_sub_f16_e32 v71, v62, v33
	v_fma_f16 v93, v31, s3, v90
	v_fma_f16 v90, v31, s0, v90
	;; [unrolled: 1-line block ×5, first 2 shown]
	v_add_f16_e32 v70, v70, v71
	v_add_f16_e32 v71, v12, v33
	v_fma_f16 v93, v30, s1, v93
	v_sub_f16_e32 v94, v12, v11
	v_sub_f16_e32 v95, v33, v62
	v_fma_f16 v90, v30, s4, v90
	v_fma_f16 v30, v30, s3, v32
	;; [unrolled: 1-line block ×3, first 2 shown]
	v_fma_f16 v71, v71, -0.5, v29
	v_sub_f16_e32 v76, v82, v91
	v_add_f16_e32 v94, v94, v95
	v_add_f16_e32 v95, v11, v62
	v_fma_f16 v30, v31, s4, v30
	v_add_f16_e32 v11, v29, v11
	v_fma_f16 v69, v88, s2, v69
	v_fma_f16 v77, v76, s3, v71
	v_sub_f16_e32 v80, v84, v92
	v_fma_f16 v88, v88, s2, v30
	v_fma_f16 v30, v76, s0, v71
	v_add_f16_e32 v12, v11, v12
	v_mov_b32_e32 v11, v9
	v_fma_f16 v77, v80, s4, v77
	v_fma_f16 v30, v80, s1, v30
	v_lshlrev_b64 v[10:11], 2, v[10:11]
	v_fma_f16 v77, v70, s2, v77
	v_fma_f16 v70, v70, s2, v30
	v_add_f16_e32 v30, v82, v74
	v_add_f16_e32 v30, v84, v30
	v_add_co_u32_e32 v10, vcc, s12, v10
	v_add_f16_e32 v30, v92, v30
	v_addc_co_u32_e32 v11, vcc, v8, v11, vcc
	v_fma_f16 v95, v95, -0.5, v29
	v_add_f16_e32 v71, v91, v30
	global_load_dwordx4 v[29:32], v[10:11], off offset:1552
	v_add_f16_e32 v8, v12, v33
	v_fma_f16 v93, v87, s2, v93
	v_fma_f16 v97, v80, s0, v95
	;; [unrolled: 1-line block ×4, first 2 shown]
	v_add_f16_e32 v10, v62, v8
	s_waitcnt vmcnt(1)
	v_lshrrev_b32_e32 v8, 16, v34
	v_lshrrev_b32_e32 v11, 16, v35
	;; [unrolled: 1-line block ×4, first 2 shown]
	s_waitcnt lgkmcnt(1)
	v_mul_f16_e32 v62, v34, v81
	v_mul_f16_e32 v74, v35, v79
	;; [unrolled: 1-line block ×4, first 2 shown]
	v_fma_f16 v62, v28, v8, v62
	v_fma_f16 v74, v26, v11, v74
	;; [unrolled: 1-line block ×4, first 2 shown]
	v_mul_f16_e32 v11, v11, v79
	v_fma_f16 v11, v26, v35, -v11
	v_mul_f16_e32 v12, v12, v64
	v_mul_f16_e32 v8, v8, v81
	;; [unrolled: 1-line block ×3, first 2 shown]
	v_sub_f16_e32 v78, v74, v62
	v_sub_f16_e32 v79, v82, v80
	v_fma_f16 v12, v25, v36, -v12
	v_fma_f16 v8, v28, v34, -v8
	;; [unrolled: 1-line block ×3, first 2 shown]
	v_add_f16_e32 v78, v78, v79
	v_add_f16_e32 v79, v62, v80
	v_fma_f16 v97, v76, s4, v97
	v_fma_f16 v90, v76, s1, v90
	v_sub_f16_e32 v76, v62, v74
	v_sub_f16_e32 v84, v80, v82
	;; [unrolled: 1-line block ×3, first 2 shown]
	v_add_f16_e32 v28, v74, v82
	v_sub_f16_e32 v34, v8, v11
	v_sub_f16_e32 v35, v26, v12
	s_waitcnt lgkmcnt(0)
	v_fma_f16 v79, v79, -0.5, v68
	v_add_f16_e32 v76, v76, v84
	v_sub_f16_e32 v27, v8, v26
	v_fma_f16 v28, v28, -0.5, v68
	v_add_f16_e32 v34, v34, v35
	v_add_f16_e32 v35, v11, v12
	v_fma_f16 v81, v25, s3, v79
	v_sub_f16_e32 v84, v11, v8
	v_sub_f16_e32 v91, v12, v26
	v_fma_f16 v79, v25, s0, v79
	v_fma_f16 v33, v27, s0, v28
	v_fma_f16 v35, v35, -0.5, v21
	v_sub_f16_e32 v36, v62, v80
	v_fma_f16 v81, v27, s1, v81
	v_add_f16_e32 v84, v84, v91
	v_add_f16_e32 v91, v8, v26
	v_fma_f16 v79, v27, s4, v79
	v_fma_f16 v27, v27, s3, v28
	v_add_f16_e32 v8, v21, v8
	v_fma_f16 v33, v25, s1, v33
	v_fma_f16 v37, v36, s3, v35
	v_sub_f16_e32 v64, v74, v82
	v_fma_f16 v25, v25, s4, v27
	v_fma_f16 v27, v36, s0, v35
	v_add_f16_e32 v8, v8, v11
	ds_read_u16 v18, v18
	v_fma_f16 v37, v64, s4, v37
	v_fma_f16 v91, v91, -0.5, v21
	v_fma_f16 v27, v64, s1, v27
	v_add_f16_e32 v8, v8, v12
	v_fma_f16 v37, v34, s2, v37
	v_fma_f16 v81, v78, s2, v81
	;; [unrolled: 1-line block ×6, first 2 shown]
	v_add_f16_e32 v28, v62, v68
	v_add_f16_e32 v11, v26, v8
	v_fma_f16 v92, v36, s4, v92
	v_fma_f16 v79, v36, s1, v79
	v_add_f16_e32 v28, v74, v28
	s_waitcnt vmcnt(0)
	v_lshrrev_b32_e32 v8, 16, v29
	v_lshrrev_b32_e32 v12, 16, v30
	v_lshrrev_b32_e32 v21, 16, v31
	v_lshrrev_b32_e32 v26, 16, v32
	v_mul_f16_e32 v34, v29, v66
	v_mul_f16_e32 v35, v30, v67
	;; [unrolled: 1-line block ×4, first 2 shown]
	v_fma_f16 v34, v20, v8, v34
	v_fma_f16 v35, v23, v12, v35
	;; [unrolled: 1-line block ×4, first 2 shown]
	v_mul_f16_e32 v8, v8, v66
	v_mul_f16_e32 v12, v12, v67
	;; [unrolled: 1-line block ×3, first 2 shown]
	v_fma_f16 v8, v20, v29, -v8
	v_mul_f16_e32 v20, v26, v65
	v_sub_f16_e32 v65, v35, v34
	v_sub_f16_e32 v66, v64, v62
	;; [unrolled: 1-line block ×4, first 2 shown]
	v_fma_f16 v12, v23, v30, -v12
	v_fma_f16 v21, v24, v31, -v21
	;; [unrolled: 1-line block ×3, first 2 shown]
	v_add_f16_e32 v65, v65, v66
	v_add_f16_e32 v66, v34, v62
	;; [unrolled: 1-line block ×3, first 2 shown]
	v_sub_f16_e32 v23, v12, v21
	v_add_f16_e32 v24, v35, v64
	v_sub_f16_e32 v29, v8, v12
	v_sub_f16_e32 v30, v20, v21
	s_waitcnt lgkmcnt(0)
	v_fma_f16 v66, v66, -0.5, v18
	v_sub_f16_e32 v68, v12, v8
	v_sub_f16_e32 v74, v21, v20
	;; [unrolled: 1-line block ×3, first 2 shown]
	v_fma_f16 v24, v24, -0.5, v18
	v_add_f16_e32 v29, v29, v30
	v_add_f16_e32 v30, v12, v21
	v_fma_f16 v67, v23, s3, v66
	v_add_f16_e32 v68, v68, v74
	v_add_f16_e32 v74, v8, v20
	v_fma_f16 v66, v23, s0, v66
	v_fma_f16 v26, v22, s0, v24
	v_fma_f16 v30, v30, -0.5, v19
	v_sub_f16_e32 v31, v34, v62
	v_sub_f16_e32 v63, v35, v64
	v_fma_f16 v67, v22, s1, v67
	v_fma_f16 v74, v74, -0.5, v19
	v_fma_f16 v66, v22, s4, v66
	v_fma_f16 v22, v22, s3, v24
	;; [unrolled: 1-line block ×8, first 2 shown]
	s_mov_b32 s0, 0x5397829d
	v_add_f16_e32 v8, v19, v8
	v_mul_hi_u32 v19, v17, s0
	v_add_f16_e32 v8, v8, v12
	v_add_co_u32_e32 v6, vcc, s10, v6
	v_lshrrev_b32_e32 v12, 7, v19
	v_mov_b32_e32 v19, s11
	v_add_f16_e32 v18, v34, v18
	v_mul_u32_u24_e32 v12, 0x188, v12
	v_addc_co_u32_e32 v7, vcc, v19, v7, vcc
	v_add_f16_e32 v18, v35, v18
	v_sub_u32_e32 v12, v17, v12
	v_add_co_u32_e32 v6, vcc, v6, v4
	v_add_f16_e32 v18, v64, v18
	v_add_f16_e32 v8, v8, v21
	v_addc_co_u32_e32 v7, vcc, v7, v5, vcc
	v_lshlrev_b32_e32 v4, 2, v12
	v_fma_f16 v67, v65, s2, v67
	v_fma_f16 v65, v65, s2, v66
	v_fma_f16 v66, v63, s3, v74
	v_fma_f16 v23, v63, s1, v23
	v_add_f16_e32 v18, v62, v18
	v_add_f16_e32 v8, v20, v8
	v_add_co_u32_e32 v4, vcc, v6, v4
	v_fma_f16 v66, v31, s1, v66
	v_fma_f16 v22, v36, s2, v22
	;; [unrolled: 1-line block ×3, first 2 shown]
	v_addc_co_u32_e32 v5, vcc, 0, v7, vcc
	v_pack_b32_f16 v8, v8, v18
	v_fma_f16 v66, v68, s2, v66
	global_store_dword v[4:5], v8, off
	v_pack_b32_f16 v8, v23, v22
	v_add_u32_e32 v12, 56, v17
	v_fma_f16 v32, v31, s3, v30
	v_fma_f16 v76, v31, s4, v76
	global_store_dword v[4:5], v8, off offset:1568
	v_pack_b32_f16 v8, v66, v65
	s_movk_i32 s1, 0x1000
	v_mul_hi_u32 v18, v12, s0
	v_fma_f16 v32, v63, s4, v32
	v_fma_f16 v76, v68, s2, v76
	global_store_dword v[4:5], v8, off offset:3136
	v_add_co_u32_e32 v4, vcc, s1, v4
	v_fma_f16 v26, v36, s2, v26
	v_fma_f16 v32, v29, s2, v32
	v_pack_b32_f16 v8, v76, v67
	v_addc_co_u32_e32 v5, vcc, 0, v5, vcc
	global_store_dword v[4:5], v8, off offset:608
	v_pack_b32_f16 v8, v32, v26
	global_store_dword v[4:5], v8, off offset:2176
	v_lshrrev_b32_e32 v4, 7, v18
	v_mul_u32_u24_e32 v5, 0x188, v4
	v_sub_u32_e32 v5, v12, v5
	s_movk_i32 s1, 0x7a8
	v_mad_u32_u24 v8, v4, s1, v5
	v_lshlrev_b64 v[4:5], 2, v[8:9]
	v_add_f16_e32 v28, v82, v28
	v_add_f16_e32 v28, v80, v28
	v_add_co_u32_e32 v4, vcc, v6, v4
	v_addc_co_u32_e32 v5, vcc, v7, v5, vcc
	v_pack_b32_f16 v11, v11, v28
	global_store_dword v[4:5], v11, off
	v_add_u32_e32 v4, 0x188, v8
	v_mov_b32_e32 v5, v9
	v_lshlrev_b64 v[4:5], 2, v[4:5]
	v_pack_b32_f16 v11, v27, v25
	v_add_co_u32_e32 v4, vcc, v6, v4
	v_addc_co_u32_e32 v5, vcc, v7, v5, vcc
	global_store_dword v[4:5], v11, off
	v_add_u32_e32 v4, 0x310, v8
	v_mov_b32_e32 v5, v9
	v_lshlrev_b64 v[4:5], 2, v[4:5]
	v_fma_f16 v79, v84, s2, v79
	v_add_co_u32_e32 v4, vcc, v6, v4
	v_addc_co_u32_e32 v5, vcc, v7, v5, vcc
	v_pack_b32_f16 v11, v79, v78
	global_store_dword v[4:5], v11, off
	v_add_u32_e32 v4, 0x498, v8
	v_mov_b32_e32 v5, v9
	v_lshlrev_b64 v[4:5], 2, v[4:5]
	v_fma_f16 v92, v84, s2, v92
	v_add_co_u32_e32 v4, vcc, v6, v4
	v_addc_co_u32_e32 v5, vcc, v7, v5, vcc
	v_pack_b32_f16 v11, v92, v81
	v_add_u32_e32 v8, 0x620, v8
	global_store_dword v[4:5], v11, off
	v_lshlrev_b64 v[4:5], 2, v[8:9]
	v_add_u32_e32 v8, 0x70, v17
	v_mul_hi_u32 v11, v8, s0
	v_add_co_u32_e32 v4, vcc, v6, v4
	v_addc_co_u32_e32 v5, vcc, v7, v5, vcc
	v_pack_b32_f16 v12, v37, v33
	global_store_dword v[4:5], v12, off
	v_lshrrev_b32_e32 v4, 7, v11
	v_mul_u32_u24_e32 v5, 0x188, v4
	v_sub_u32_e32 v5, v8, v5
	v_mad_u32_u24 v8, v4, s1, v5
	v_lshlrev_b64 v[4:5], 2, v[8:9]
	v_pack_b32_f16 v10, v10, v71
	v_add_co_u32_e32 v4, vcc, v6, v4
	v_addc_co_u32_e32 v5, vcc, v7, v5, vcc
	global_store_dword v[4:5], v10, off
	v_add_u32_e32 v4, 0x188, v8
	v_mov_b32_e32 v5, v9
	v_lshlrev_b64 v[4:5], 2, v[4:5]
	v_pack_b32_f16 v10, v70, v88
	v_add_co_u32_e32 v4, vcc, v6, v4
	v_addc_co_u32_e32 v5, vcc, v7, v5, vcc
	global_store_dword v[4:5], v10, off
	v_add_u32_e32 v4, 0x310, v8
	v_mov_b32_e32 v5, v9
	v_lshlrev_b64 v[4:5], 2, v[4:5]
	v_fma_f16 v90, v94, s2, v90
	v_add_co_u32_e32 v4, vcc, v6, v4
	v_addc_co_u32_e32 v5, vcc, v7, v5, vcc
	v_pack_b32_f16 v10, v90, v87
	global_store_dword v[4:5], v10, off
	v_add_u32_e32 v4, 0x498, v8
	v_mov_b32_e32 v5, v9
	v_lshlrev_b64 v[4:5], 2, v[4:5]
	v_fma_f16 v97, v94, s2, v97
	v_add_co_u32_e32 v4, vcc, v6, v4
	v_addc_co_u32_e32 v5, vcc, v7, v5, vcc
	v_pack_b32_f16 v10, v97, v93
	v_add_u32_e32 v8, 0x620, v8
	global_store_dword v[4:5], v10, off
	v_lshlrev_b64 v[4:5], 2, v[8:9]
	v_add_u32_e32 v8, 0xa8, v17
	v_mul_hi_u32 v10, v8, s0
	v_add_co_u32_e32 v4, vcc, v6, v4
	v_addc_co_u32_e32 v5, vcc, v7, v5, vcc
	v_pack_b32_f16 v11, v77, v69
	global_store_dword v[4:5], v11, off
	v_lshrrev_b32_e32 v4, 7, v10
	v_mul_u32_u24_e32 v5, 0x188, v4
	v_sub_u32_e32 v5, v8, v5
	v_mad_u32_u24 v8, v4, s1, v5
	v_lshlrev_b64 v[4:5], 2, v[8:9]
	v_pack_b32_f16 v10, v38, v75
	v_add_co_u32_e32 v4, vcc, v6, v4
	v_addc_co_u32_e32 v5, vcc, v7, v5, vcc
	global_store_dword v[4:5], v10, off
	v_add_u32_e32 v4, 0x188, v8
	v_mov_b32_e32 v5, v9
	v_lshlrev_b64 v[4:5], 2, v[4:5]
	v_pack_b32_f16 v10, v73, v72
	v_add_co_u32_e32 v4, vcc, v6, v4
	v_addc_co_u32_e32 v5, vcc, v7, v5, vcc
	global_store_dword v[4:5], v10, off
	v_add_u32_e32 v4, 0x310, v8
	v_mov_b32_e32 v5, v9
	v_lshlrev_b64 v[4:5], 2, v[4:5]
	v_pack_b32_f16 v10, v86, v85
	v_add_co_u32_e32 v4, vcc, v6, v4
	v_addc_co_u32_e32 v5, vcc, v7, v5, vcc
	global_store_dword v[4:5], v10, off
	v_add_u32_e32 v4, 0x498, v8
	v_mov_b32_e32 v5, v9
	v_lshlrev_b64 v[4:5], 2, v[4:5]
	v_pack_b32_f16 v10, v96, v89
	v_add_co_u32_e32 v4, vcc, v6, v4
	v_addc_co_u32_e32 v5, vcc, v7, v5, vcc
	v_add_u32_e32 v8, 0x620, v8
	global_store_dword v[4:5], v10, off
	v_lshlrev_b64 v[4:5], 2, v[8:9]
	v_add_u32_e32 v8, 0xe0, v17
	v_mul_hi_u32 v10, v8, s0
	v_add_co_u32_e32 v4, vcc, v6, v4
	v_addc_co_u32_e32 v5, vcc, v7, v5, vcc
	v_pack_b32_f16 v11, v83, v13
	global_store_dword v[4:5], v11, off
	v_lshrrev_b32_e32 v4, 7, v10
	v_mul_u32_u24_e32 v5, 0x188, v4
	v_sub_u32_e32 v5, v8, v5
	v_mad_u32_u24 v8, v4, s1, v5
	v_lshlrev_b64 v[4:5], 2, v[8:9]
	v_pack_b32_f16 v10, v39, v61
	v_add_co_u32_e32 v4, vcc, v6, v4
	v_addc_co_u32_e32 v5, vcc, v7, v5, vcc
	global_store_dword v[4:5], v10, off
	v_add_u32_e32 v4, 0x188, v8
	v_mov_b32_e32 v5, v9
	v_lshlrev_b64 v[4:5], 2, v[4:5]
	v_pack_b32_f16 v10, v60, v59
	v_add_co_u32_e32 v4, vcc, v6, v4
	v_addc_co_u32_e32 v5, vcc, v7, v5, vcc
	global_store_dword v[4:5], v10, off
	v_add_u32_e32 v4, 0x310, v8
	v_mov_b32_e32 v5, v9
	v_lshlrev_b64 v[4:5], 2, v[4:5]
	v_pack_b32_f16 v10, v58, v48
	v_add_co_u32_e32 v4, vcc, v6, v4
	v_addc_co_u32_e32 v5, vcc, v7, v5, vcc
	global_store_dword v[4:5], v10, off
	v_add_u32_e32 v4, 0x498, v8
	v_mov_b32_e32 v5, v9
	v_lshlrev_b64 v[4:5], 2, v[4:5]
	v_pack_b32_f16 v10, v46, v45
	v_add_co_u32_e32 v4, vcc, v6, v4
	v_addc_co_u32_e32 v5, vcc, v7, v5, vcc
	;; [unrolled: 38-line block ×4, first 2 shown]
	v_add_u32_e32 v8, 0x620, v8
	global_store_dword v[4:5], v2, off
	v_lshlrev_b64 v[2:3], 2, v[8:9]
	v_pack_b32_f16 v0, v1, v0
	v_add_co_u32_e32 v2, vcc, v6, v2
	v_addc_co_u32_e32 v3, vcc, v7, v3, vcc
	global_store_dword v[2:3], v0, off
.LBB0_29:
	s_endpgm
	.section	.rodata,"a",@progbits
	.p2align	6, 0x0
	.amdhsa_kernel fft_rtc_fwd_len1960_factors_4_7_2_7_5_wgs_56_tpt_56_halfLds_half_op_CI_CI_unitstride_sbrr_dirReg
		.amdhsa_group_segment_fixed_size 0
		.amdhsa_private_segment_fixed_size 0
		.amdhsa_kernarg_size 104
		.amdhsa_user_sgpr_count 6
		.amdhsa_user_sgpr_private_segment_buffer 1
		.amdhsa_user_sgpr_dispatch_ptr 0
		.amdhsa_user_sgpr_queue_ptr 0
		.amdhsa_user_sgpr_kernarg_segment_ptr 1
		.amdhsa_user_sgpr_dispatch_id 0
		.amdhsa_user_sgpr_flat_scratch_init 0
		.amdhsa_user_sgpr_private_segment_size 0
		.amdhsa_uses_dynamic_stack 0
		.amdhsa_system_sgpr_private_segment_wavefront_offset 0
		.amdhsa_system_sgpr_workgroup_id_x 1
		.amdhsa_system_sgpr_workgroup_id_y 0
		.amdhsa_system_sgpr_workgroup_id_z 0
		.amdhsa_system_sgpr_workgroup_info 0
		.amdhsa_system_vgpr_workitem_id 0
		.amdhsa_next_free_vgpr 148
		.amdhsa_next_free_sgpr 28
		.amdhsa_reserve_vcc 1
		.amdhsa_reserve_flat_scratch 0
		.amdhsa_float_round_mode_32 0
		.amdhsa_float_round_mode_16_64 0
		.amdhsa_float_denorm_mode_32 3
		.amdhsa_float_denorm_mode_16_64 3
		.amdhsa_dx10_clamp 1
		.amdhsa_ieee_mode 1
		.amdhsa_fp16_overflow 0
		.amdhsa_exception_fp_ieee_invalid_op 0
		.amdhsa_exception_fp_denorm_src 0
		.amdhsa_exception_fp_ieee_div_zero 0
		.amdhsa_exception_fp_ieee_overflow 0
		.amdhsa_exception_fp_ieee_underflow 0
		.amdhsa_exception_fp_ieee_inexact 0
		.amdhsa_exception_int_div_zero 0
	.end_amdhsa_kernel
	.text
.Lfunc_end0:
	.size	fft_rtc_fwd_len1960_factors_4_7_2_7_5_wgs_56_tpt_56_halfLds_half_op_CI_CI_unitstride_sbrr_dirReg, .Lfunc_end0-fft_rtc_fwd_len1960_factors_4_7_2_7_5_wgs_56_tpt_56_halfLds_half_op_CI_CI_unitstride_sbrr_dirReg
                                        ; -- End function
	.section	.AMDGPU.csdata,"",@progbits
; Kernel info:
; codeLenInByte = 21592
; NumSgprs: 32
; NumVgprs: 148
; ScratchSize: 0
; MemoryBound: 0
; FloatMode: 240
; IeeeMode: 1
; LDSByteSize: 0 bytes/workgroup (compile time only)
; SGPRBlocks: 3
; VGPRBlocks: 36
; NumSGPRsForWavesPerEU: 32
; NumVGPRsForWavesPerEU: 148
; Occupancy: 1
; WaveLimiterHint : 1
; COMPUTE_PGM_RSRC2:SCRATCH_EN: 0
; COMPUTE_PGM_RSRC2:USER_SGPR: 6
; COMPUTE_PGM_RSRC2:TRAP_HANDLER: 0
; COMPUTE_PGM_RSRC2:TGID_X_EN: 1
; COMPUTE_PGM_RSRC2:TGID_Y_EN: 0
; COMPUTE_PGM_RSRC2:TGID_Z_EN: 0
; COMPUTE_PGM_RSRC2:TIDIG_COMP_CNT: 0
	.type	__hip_cuid_1753d1c12e70b505,@object ; @__hip_cuid_1753d1c12e70b505
	.section	.bss,"aw",@nobits
	.globl	__hip_cuid_1753d1c12e70b505
__hip_cuid_1753d1c12e70b505:
	.byte	0                               ; 0x0
	.size	__hip_cuid_1753d1c12e70b505, 1

	.ident	"AMD clang version 19.0.0git (https://github.com/RadeonOpenCompute/llvm-project roc-6.4.0 25133 c7fe45cf4b819c5991fe208aaa96edf142730f1d)"
	.section	".note.GNU-stack","",@progbits
	.addrsig
	.addrsig_sym __hip_cuid_1753d1c12e70b505
	.amdgpu_metadata
---
amdhsa.kernels:
  - .args:
      - .actual_access:  read_only
        .address_space:  global
        .offset:         0
        .size:           8
        .value_kind:     global_buffer
      - .offset:         8
        .size:           8
        .value_kind:     by_value
      - .actual_access:  read_only
        .address_space:  global
        .offset:         16
        .size:           8
        .value_kind:     global_buffer
      - .actual_access:  read_only
        .address_space:  global
        .offset:         24
        .size:           8
        .value_kind:     global_buffer
      - .actual_access:  read_only
        .address_space:  global
        .offset:         32
        .size:           8
        .value_kind:     global_buffer
      - .offset:         40
        .size:           8
        .value_kind:     by_value
      - .actual_access:  read_only
        .address_space:  global
        .offset:         48
        .size:           8
        .value_kind:     global_buffer
      - .actual_access:  read_only
        .address_space:  global
        .offset:         56
        .size:           8
        .value_kind:     global_buffer
      - .offset:         64
        .size:           4
        .value_kind:     by_value
      - .actual_access:  read_only
        .address_space:  global
        .offset:         72
        .size:           8
        .value_kind:     global_buffer
      - .actual_access:  read_only
        .address_space:  global
        .offset:         80
        .size:           8
        .value_kind:     global_buffer
      - .actual_access:  read_only
        .address_space:  global
        .offset:         88
        .size:           8
        .value_kind:     global_buffer
      - .actual_access:  write_only
        .address_space:  global
        .offset:         96
        .size:           8
        .value_kind:     global_buffer
    .group_segment_fixed_size: 0
    .kernarg_segment_align: 8
    .kernarg_segment_size: 104
    .language:       OpenCL C
    .language_version:
      - 2
      - 0
    .max_flat_workgroup_size: 56
    .name:           fft_rtc_fwd_len1960_factors_4_7_2_7_5_wgs_56_tpt_56_halfLds_half_op_CI_CI_unitstride_sbrr_dirReg
    .private_segment_fixed_size: 0
    .sgpr_count:     32
    .sgpr_spill_count: 0
    .symbol:         fft_rtc_fwd_len1960_factors_4_7_2_7_5_wgs_56_tpt_56_halfLds_half_op_CI_CI_unitstride_sbrr_dirReg.kd
    .uniform_work_group_size: 1
    .uses_dynamic_stack: false
    .vgpr_count:     148
    .vgpr_spill_count: 0
    .wavefront_size: 64
amdhsa.target:   amdgcn-amd-amdhsa--gfx906
amdhsa.version:
  - 1
  - 2
...

	.end_amdgpu_metadata
